;; amdgpu-corpus repo=zjin-lcf/HeCBench kind=compiled arch=gfx950 opt=O3
	.amdgcn_target "amdgcn-amd-amdhsa--gfx950"
	.amdhsa_code_object_version 6
	.section	.text._Z4Add1IfEvPT_iS0_,"axG",@progbits,_Z4Add1IfEvPT_iS0_,comdat
	.protected	_Z4Add1IfEvPT_iS0_      ; -- Begin function _Z4Add1IfEvPT_iS0_
	.globl	_Z4Add1IfEvPT_iS0_
	.p2align	8
	.type	_Z4Add1IfEvPT_iS0_,@function
_Z4Add1IfEvPT_iS0_:                     ; @_Z4Add1IfEvPT_iS0_
; %bb.0:
	s_load_dword s3, s[0:1], 0x1c
	s_load_dwordx4 s[4:7], s[0:1], 0x0
	s_waitcnt lgkmcnt(0)
	s_and_b32 s0, s3, 0xffff
	s_mul_i32 s2, s2, s0
	v_add_u32_e32 v0, s2, v0
	v_ashrrev_i32_e32 v1, 31, v0
	v_lshl_add_u64 v[0:1], v[0:1], 2, s[4:5]
	global_load_dword v2, v[0:1], off
	s_cmp_lt_i32 s6, 1
	s_cbranch_scc1 .LBB0_2
.LBB0_1:                                ; =>This Inner Loop Header: Depth=1
	s_waitcnt vmcnt(0)
	v_sub_f32_e32 v2, s7, v2
	v_sub_f32_e32 v2, s7, v2
	v_sub_f32_e32 v2, s7, v2
	v_sub_f32_e32 v2, s7, v2
	v_sub_f32_e32 v2, s7, v2
	v_sub_f32_e32 v2, s7, v2
	v_sub_f32_e32 v2, s7, v2
	v_sub_f32_e32 v2, s7, v2
	v_sub_f32_e32 v2, s7, v2
	v_sub_f32_e32 v2, s7, v2
	v_sub_f32_e32 v2, s7, v2
	v_sub_f32_e32 v2, s7, v2
	v_sub_f32_e32 v2, s7, v2
	v_sub_f32_e32 v2, s7, v2
	v_sub_f32_e32 v2, s7, v2
	v_sub_f32_e32 v2, s7, v2
	v_sub_f32_e32 v2, s7, v2
	v_sub_f32_e32 v2, s7, v2
	v_sub_f32_e32 v2, s7, v2
	v_sub_f32_e32 v2, s7, v2
	v_sub_f32_e32 v2, s7, v2
	v_sub_f32_e32 v2, s7, v2
	v_sub_f32_e32 v2, s7, v2
	v_sub_f32_e32 v2, s7, v2
	v_sub_f32_e32 v2, s7, v2
	v_sub_f32_e32 v2, s7, v2
	v_sub_f32_e32 v2, s7, v2
	v_sub_f32_e32 v2, s7, v2
	v_sub_f32_e32 v2, s7, v2
	v_sub_f32_e32 v2, s7, v2
	v_sub_f32_e32 v2, s7, v2
	v_sub_f32_e32 v2, s7, v2
	v_sub_f32_e32 v2, s7, v2
	v_sub_f32_e32 v2, s7, v2
	v_sub_f32_e32 v2, s7, v2
	v_sub_f32_e32 v2, s7, v2
	v_sub_f32_e32 v2, s7, v2
	v_sub_f32_e32 v2, s7, v2
	v_sub_f32_e32 v2, s7, v2
	v_sub_f32_e32 v2, s7, v2
	v_sub_f32_e32 v2, s7, v2
	v_sub_f32_e32 v2, s7, v2
	v_sub_f32_e32 v2, s7, v2
	v_sub_f32_e32 v2, s7, v2
	v_sub_f32_e32 v2, s7, v2
	v_sub_f32_e32 v2, s7, v2
	v_sub_f32_e32 v2, s7, v2
	v_sub_f32_e32 v2, s7, v2
	v_sub_f32_e32 v2, s7, v2
	v_sub_f32_e32 v2, s7, v2
	v_sub_f32_e32 v2, s7, v2
	v_sub_f32_e32 v2, s7, v2
	v_sub_f32_e32 v2, s7, v2
	v_sub_f32_e32 v2, s7, v2
	v_sub_f32_e32 v2, s7, v2
	v_sub_f32_e32 v2, s7, v2
	v_sub_f32_e32 v2, s7, v2
	v_sub_f32_e32 v2, s7, v2
	v_sub_f32_e32 v2, s7, v2
	v_sub_f32_e32 v2, s7, v2
	v_sub_f32_e32 v2, s7, v2
	v_sub_f32_e32 v2, s7, v2
	v_sub_f32_e32 v2, s7, v2
	v_sub_f32_e32 v2, s7, v2
	v_sub_f32_e32 v2, s7, v2
	v_sub_f32_e32 v2, s7, v2
	v_sub_f32_e32 v2, s7, v2
	v_sub_f32_e32 v2, s7, v2
	v_sub_f32_e32 v2, s7, v2
	v_sub_f32_e32 v2, s7, v2
	v_sub_f32_e32 v2, s7, v2
	v_sub_f32_e32 v2, s7, v2
	v_sub_f32_e32 v2, s7, v2
	v_sub_f32_e32 v2, s7, v2
	v_sub_f32_e32 v2, s7, v2
	v_sub_f32_e32 v2, s7, v2
	v_sub_f32_e32 v2, s7, v2
	v_sub_f32_e32 v2, s7, v2
	v_sub_f32_e32 v2, s7, v2
	v_sub_f32_e32 v2, s7, v2
	v_sub_f32_e32 v2, s7, v2
	v_sub_f32_e32 v2, s7, v2
	v_sub_f32_e32 v2, s7, v2
	v_sub_f32_e32 v2, s7, v2
	v_sub_f32_e32 v2, s7, v2
	v_sub_f32_e32 v2, s7, v2
	v_sub_f32_e32 v2, s7, v2
	v_sub_f32_e32 v2, s7, v2
	v_sub_f32_e32 v2, s7, v2
	v_sub_f32_e32 v2, s7, v2
	v_sub_f32_e32 v2, s7, v2
	v_sub_f32_e32 v2, s7, v2
	v_sub_f32_e32 v2, s7, v2
	v_sub_f32_e32 v2, s7, v2
	v_sub_f32_e32 v2, s7, v2
	v_sub_f32_e32 v2, s7, v2
	v_sub_f32_e32 v2, s7, v2
	v_sub_f32_e32 v2, s7, v2
	v_sub_f32_e32 v2, s7, v2
	v_sub_f32_e32 v2, s7, v2
	v_sub_f32_e32 v2, s7, v2
	v_sub_f32_e32 v2, s7, v2
	v_sub_f32_e32 v2, s7, v2
	v_sub_f32_e32 v2, s7, v2
	v_sub_f32_e32 v2, s7, v2
	v_sub_f32_e32 v2, s7, v2
	v_sub_f32_e32 v2, s7, v2
	v_sub_f32_e32 v2, s7, v2
	v_sub_f32_e32 v2, s7, v2
	v_sub_f32_e32 v2, s7, v2
	v_sub_f32_e32 v2, s7, v2
	v_sub_f32_e32 v2, s7, v2
	v_sub_f32_e32 v2, s7, v2
	v_sub_f32_e32 v2, s7, v2
	v_sub_f32_e32 v2, s7, v2
	v_sub_f32_e32 v2, s7, v2
	v_sub_f32_e32 v2, s7, v2
	v_sub_f32_e32 v2, s7, v2
	v_sub_f32_e32 v2, s7, v2
	v_sub_f32_e32 v2, s7, v2
	v_sub_f32_e32 v2, s7, v2
	v_sub_f32_e32 v2, s7, v2
	v_sub_f32_e32 v2, s7, v2
	v_sub_f32_e32 v2, s7, v2
	v_sub_f32_e32 v2, s7, v2
	v_sub_f32_e32 v2, s7, v2
	v_sub_f32_e32 v2, s7, v2
	v_sub_f32_e32 v2, s7, v2
	v_sub_f32_e32 v2, s7, v2
	v_sub_f32_e32 v2, s7, v2
	v_sub_f32_e32 v2, s7, v2
	v_sub_f32_e32 v2, s7, v2
	v_sub_f32_e32 v2, s7, v2
	v_sub_f32_e32 v2, s7, v2
	v_sub_f32_e32 v2, s7, v2
	v_sub_f32_e32 v2, s7, v2
	v_sub_f32_e32 v2, s7, v2
	v_sub_f32_e32 v2, s7, v2
	v_sub_f32_e32 v2, s7, v2
	v_sub_f32_e32 v2, s7, v2
	v_sub_f32_e32 v2, s7, v2
	v_sub_f32_e32 v2, s7, v2
	v_sub_f32_e32 v2, s7, v2
	v_sub_f32_e32 v2, s7, v2
	v_sub_f32_e32 v2, s7, v2
	v_sub_f32_e32 v2, s7, v2
	v_sub_f32_e32 v2, s7, v2
	v_sub_f32_e32 v2, s7, v2
	v_sub_f32_e32 v2, s7, v2
	v_sub_f32_e32 v2, s7, v2
	v_sub_f32_e32 v2, s7, v2
	v_sub_f32_e32 v2, s7, v2
	v_sub_f32_e32 v2, s7, v2
	v_sub_f32_e32 v2, s7, v2
	v_sub_f32_e32 v2, s7, v2
	v_sub_f32_e32 v2, s7, v2
	v_sub_f32_e32 v2, s7, v2
	v_sub_f32_e32 v2, s7, v2
	v_sub_f32_e32 v2, s7, v2
	v_sub_f32_e32 v2, s7, v2
	v_sub_f32_e32 v2, s7, v2
	v_sub_f32_e32 v2, s7, v2
	v_sub_f32_e32 v2, s7, v2
	v_sub_f32_e32 v2, s7, v2
	v_sub_f32_e32 v2, s7, v2
	v_sub_f32_e32 v2, s7, v2
	v_sub_f32_e32 v2, s7, v2
	v_sub_f32_e32 v2, s7, v2
	v_sub_f32_e32 v2, s7, v2
	v_sub_f32_e32 v2, s7, v2
	v_sub_f32_e32 v2, s7, v2
	v_sub_f32_e32 v2, s7, v2
	v_sub_f32_e32 v2, s7, v2
	v_sub_f32_e32 v2, s7, v2
	v_sub_f32_e32 v2, s7, v2
	v_sub_f32_e32 v2, s7, v2
	v_sub_f32_e32 v2, s7, v2
	v_sub_f32_e32 v2, s7, v2
	v_sub_f32_e32 v2, s7, v2
	v_sub_f32_e32 v2, s7, v2
	v_sub_f32_e32 v2, s7, v2
	v_sub_f32_e32 v2, s7, v2
	v_sub_f32_e32 v2, s7, v2
	v_sub_f32_e32 v2, s7, v2
	v_sub_f32_e32 v2, s7, v2
	v_sub_f32_e32 v2, s7, v2
	v_sub_f32_e32 v2, s7, v2
	v_sub_f32_e32 v2, s7, v2
	v_sub_f32_e32 v2, s7, v2
	v_sub_f32_e32 v2, s7, v2
	v_sub_f32_e32 v2, s7, v2
	v_sub_f32_e32 v2, s7, v2
	v_sub_f32_e32 v2, s7, v2
	v_sub_f32_e32 v2, s7, v2
	v_sub_f32_e32 v2, s7, v2
	v_sub_f32_e32 v2, s7, v2
	v_sub_f32_e32 v2, s7, v2
	v_sub_f32_e32 v2, s7, v2
	v_sub_f32_e32 v2, s7, v2
	v_sub_f32_e32 v2, s7, v2
	v_sub_f32_e32 v2, s7, v2
	v_sub_f32_e32 v2, s7, v2
	v_sub_f32_e32 v2, s7, v2
	v_sub_f32_e32 v2, s7, v2
	v_sub_f32_e32 v2, s7, v2
	v_sub_f32_e32 v2, s7, v2
	v_sub_f32_e32 v2, s7, v2
	v_sub_f32_e32 v2, s7, v2
	v_sub_f32_e32 v2, s7, v2
	v_sub_f32_e32 v2, s7, v2
	v_sub_f32_e32 v2, s7, v2
	v_sub_f32_e32 v2, s7, v2
	v_sub_f32_e32 v2, s7, v2
	v_sub_f32_e32 v2, s7, v2
	v_sub_f32_e32 v2, s7, v2
	v_sub_f32_e32 v2, s7, v2
	v_sub_f32_e32 v2, s7, v2
	v_sub_f32_e32 v2, s7, v2
	v_sub_f32_e32 v2, s7, v2
	v_sub_f32_e32 v2, s7, v2
	v_sub_f32_e32 v2, s7, v2
	v_sub_f32_e32 v2, s7, v2
	v_sub_f32_e32 v2, s7, v2
	v_sub_f32_e32 v2, s7, v2
	v_sub_f32_e32 v2, s7, v2
	v_sub_f32_e32 v2, s7, v2
	v_sub_f32_e32 v2, s7, v2
	v_sub_f32_e32 v2, s7, v2
	v_sub_f32_e32 v2, s7, v2
	v_sub_f32_e32 v2, s7, v2
	v_sub_f32_e32 v2, s7, v2
	v_sub_f32_e32 v2, s7, v2
	v_sub_f32_e32 v2, s7, v2
	v_sub_f32_e32 v2, s7, v2
	v_sub_f32_e32 v2, s7, v2
	v_sub_f32_e32 v2, s7, v2
	v_sub_f32_e32 v2, s7, v2
	v_sub_f32_e32 v2, s7, v2
	v_sub_f32_e32 v2, s7, v2
	s_add_i32 s6, s6, -1
	s_cmp_eq_u32 s6, 0
	v_sub_f32_e32 v2, s7, v2
	s_cbranch_scc0 .LBB0_1
.LBB0_2:
	s_waitcnt vmcnt(0)
	global_store_dword v[0:1], v2, off
	s_endpgm
	.section	.rodata,"a",@progbits
	.p2align	6, 0x0
	.amdhsa_kernel _Z4Add1IfEvPT_iS0_
		.amdhsa_group_segment_fixed_size 0
		.amdhsa_private_segment_fixed_size 0
		.amdhsa_kernarg_size 272
		.amdhsa_user_sgpr_count 2
		.amdhsa_user_sgpr_dispatch_ptr 0
		.amdhsa_user_sgpr_queue_ptr 0
		.amdhsa_user_sgpr_kernarg_segment_ptr 1
		.amdhsa_user_sgpr_dispatch_id 0
		.amdhsa_user_sgpr_kernarg_preload_length 0
		.amdhsa_user_sgpr_kernarg_preload_offset 0
		.amdhsa_user_sgpr_private_segment_size 0
		.amdhsa_uses_dynamic_stack 0
		.amdhsa_enable_private_segment 0
		.amdhsa_system_sgpr_workgroup_id_x 1
		.amdhsa_system_sgpr_workgroup_id_y 0
		.amdhsa_system_sgpr_workgroup_id_z 0
		.amdhsa_system_sgpr_workgroup_info 0
		.amdhsa_system_vgpr_workitem_id 0
		.amdhsa_next_free_vgpr 3
		.amdhsa_next_free_sgpr 8
		.amdhsa_accum_offset 4
		.amdhsa_reserve_vcc 0
		.amdhsa_float_round_mode_32 0
		.amdhsa_float_round_mode_16_64 0
		.amdhsa_float_denorm_mode_32 3
		.amdhsa_float_denorm_mode_16_64 3
		.amdhsa_dx10_clamp 1
		.amdhsa_ieee_mode 1
		.amdhsa_fp16_overflow 0
		.amdhsa_tg_split 0
		.amdhsa_exception_fp_ieee_invalid_op 0
		.amdhsa_exception_fp_denorm_src 0
		.amdhsa_exception_fp_ieee_div_zero 0
		.amdhsa_exception_fp_ieee_overflow 0
		.amdhsa_exception_fp_ieee_underflow 0
		.amdhsa_exception_fp_ieee_inexact 0
		.amdhsa_exception_int_div_zero 0
	.end_amdhsa_kernel
	.section	.text._Z4Add1IfEvPT_iS0_,"axG",@progbits,_Z4Add1IfEvPT_iS0_,comdat
.Lfunc_end0:
	.size	_Z4Add1IfEvPT_iS0_, .Lfunc_end0-_Z4Add1IfEvPT_iS0_
                                        ; -- End function
	.set _Z4Add1IfEvPT_iS0_.num_vgpr, 3
	.set _Z4Add1IfEvPT_iS0_.num_agpr, 0
	.set _Z4Add1IfEvPT_iS0_.numbered_sgpr, 8
	.set _Z4Add1IfEvPT_iS0_.num_named_barrier, 0
	.set _Z4Add1IfEvPT_iS0_.private_seg_size, 0
	.set _Z4Add1IfEvPT_iS0_.uses_vcc, 0
	.set _Z4Add1IfEvPT_iS0_.uses_flat_scratch, 0
	.set _Z4Add1IfEvPT_iS0_.has_dyn_sized_stack, 0
	.set _Z4Add1IfEvPT_iS0_.has_recursion, 0
	.set _Z4Add1IfEvPT_iS0_.has_indirect_call, 0
	.section	.AMDGPU.csdata,"",@progbits
; Kernel info:
; codeLenInByte = 1056
; TotalNumSgprs: 14
; NumVgprs: 3
; NumAgprs: 0
; TotalNumVgprs: 3
; ScratchSize: 0
; MemoryBound: 0
; FloatMode: 240
; IeeeMode: 1
; LDSByteSize: 0 bytes/workgroup (compile time only)
; SGPRBlocks: 1
; VGPRBlocks: 0
; NumSGPRsForWavesPerEU: 14
; NumVGPRsForWavesPerEU: 3
; AccumOffset: 4
; Occupancy: 8
; WaveLimiterHint : 0
; COMPUTE_PGM_RSRC2:SCRATCH_EN: 0
; COMPUTE_PGM_RSRC2:USER_SGPR: 2
; COMPUTE_PGM_RSRC2:TRAP_HANDLER: 0
; COMPUTE_PGM_RSRC2:TGID_X_EN: 1
; COMPUTE_PGM_RSRC2:TGID_Y_EN: 0
; COMPUTE_PGM_RSRC2:TGID_Z_EN: 0
; COMPUTE_PGM_RSRC2:TIDIG_COMP_CNT: 0
; COMPUTE_PGM_RSRC3_GFX90A:ACCUM_OFFSET: 0
; COMPUTE_PGM_RSRC3_GFX90A:TG_SPLIT: 0
	.section	.text._Z4Add2IfEvPT_iS0_,"axG",@progbits,_Z4Add2IfEvPT_iS0_,comdat
	.protected	_Z4Add2IfEvPT_iS0_      ; -- Begin function _Z4Add2IfEvPT_iS0_
	.globl	_Z4Add2IfEvPT_iS0_
	.p2align	8
	.type	_Z4Add2IfEvPT_iS0_,@function
_Z4Add2IfEvPT_iS0_:                     ; @_Z4Add2IfEvPT_iS0_
; %bb.0:
	s_load_dword s3, s[0:1], 0x1c
	s_load_dwordx4 s[4:7], s[0:1], 0x0
	s_waitcnt lgkmcnt(0)
	s_and_b32 s0, s3, 0xffff
	s_mul_i32 s2, s2, s0
	v_add_u32_e32 v0, s2, v0
	v_ashrrev_i32_e32 v1, 31, v0
	v_lshl_add_u64 v[0:1], v[0:1], 2, s[4:5]
	global_load_dword v3, v[0:1], off
	s_cmp_lt_i32 s6, 1
	s_waitcnt vmcnt(0)
	v_sub_f32_e32 v2, 0x41200000, v3
	s_cbranch_scc1 .LBB1_3
; %bb.1:
	s_mov_b32 s0, s7
	s_mov_b32 s1, s7
.LBB1_2:                                ; =>This Inner Loop Header: Depth=1
	v_pk_add_f32 v[2:3], s[0:1], v[2:3] neg_lo:[0,1] neg_hi:[0,1]
	s_add_i32 s6, s6, -1
	v_pk_add_f32 v[2:3], s[0:1], v[2:3] neg_lo:[0,1] neg_hi:[0,1]
	s_cmp_eq_u32 s6, 0
	v_pk_add_f32 v[2:3], s[0:1], v[2:3] neg_lo:[0,1] neg_hi:[0,1]
	s_nop 0
	v_pk_add_f32 v[2:3], s[0:1], v[2:3] neg_lo:[0,1] neg_hi:[0,1]
	s_nop 0
	;; [unrolled: 2-line block ×117, first 2 shown]
	v_pk_add_f32 v[2:3], s[0:1], v[2:3] neg_lo:[0,1] neg_hi:[0,1]
	s_cbranch_scc0 .LBB1_2
.LBB1_3:
	v_add_f32_e32 v2, v3, v2
	global_store_dword v[0:1], v2, off
	s_endpgm
	.section	.rodata,"a",@progbits
	.p2align	6, 0x0
	.amdhsa_kernel _Z4Add2IfEvPT_iS0_
		.amdhsa_group_segment_fixed_size 0
		.amdhsa_private_segment_fixed_size 0
		.amdhsa_kernarg_size 272
		.amdhsa_user_sgpr_count 2
		.amdhsa_user_sgpr_dispatch_ptr 0
		.amdhsa_user_sgpr_queue_ptr 0
		.amdhsa_user_sgpr_kernarg_segment_ptr 1
		.amdhsa_user_sgpr_dispatch_id 0
		.amdhsa_user_sgpr_kernarg_preload_length 0
		.amdhsa_user_sgpr_kernarg_preload_offset 0
		.amdhsa_user_sgpr_private_segment_size 0
		.amdhsa_uses_dynamic_stack 0
		.amdhsa_enable_private_segment 0
		.amdhsa_system_sgpr_workgroup_id_x 1
		.amdhsa_system_sgpr_workgroup_id_y 0
		.amdhsa_system_sgpr_workgroup_id_z 0
		.amdhsa_system_sgpr_workgroup_info 0
		.amdhsa_system_vgpr_workitem_id 0
		.amdhsa_next_free_vgpr 4
		.amdhsa_next_free_sgpr 8
		.amdhsa_accum_offset 4
		.amdhsa_reserve_vcc 0
		.amdhsa_float_round_mode_32 0
		.amdhsa_float_round_mode_16_64 0
		.amdhsa_float_denorm_mode_32 3
		.amdhsa_float_denorm_mode_16_64 3
		.amdhsa_dx10_clamp 1
		.amdhsa_ieee_mode 1
		.amdhsa_fp16_overflow 0
		.amdhsa_tg_split 0
		.amdhsa_exception_fp_ieee_invalid_op 0
		.amdhsa_exception_fp_denorm_src 0
		.amdhsa_exception_fp_ieee_div_zero 0
		.amdhsa_exception_fp_ieee_overflow 0
		.amdhsa_exception_fp_ieee_underflow 0
		.amdhsa_exception_fp_ieee_inexact 0
		.amdhsa_exception_int_div_zero 0
	.end_amdhsa_kernel
	.section	.text._Z4Add2IfEvPT_iS0_,"axG",@progbits,_Z4Add2IfEvPT_iS0_,comdat
.Lfunc_end1:
	.size	_Z4Add2IfEvPT_iS0_, .Lfunc_end1-_Z4Add2IfEvPT_iS0_
                                        ; -- End function
	.set _Z4Add2IfEvPT_iS0_.num_vgpr, 4
	.set _Z4Add2IfEvPT_iS0_.num_agpr, 0
	.set _Z4Add2IfEvPT_iS0_.numbered_sgpr, 8
	.set _Z4Add2IfEvPT_iS0_.num_named_barrier, 0
	.set _Z4Add2IfEvPT_iS0_.private_seg_size, 0
	.set _Z4Add2IfEvPT_iS0_.uses_vcc, 0
	.set _Z4Add2IfEvPT_iS0_.uses_flat_scratch, 0
	.set _Z4Add2IfEvPT_iS0_.has_dyn_sized_stack, 0
	.set _Z4Add2IfEvPT_iS0_.has_recursion, 0
	.set _Z4Add2IfEvPT_iS0_.has_indirect_call, 0
	.section	.AMDGPU.csdata,"",@progbits
; Kernel info:
; codeLenInByte = 1540
; TotalNumSgprs: 14
; NumVgprs: 4
; NumAgprs: 0
; TotalNumVgprs: 4
; ScratchSize: 0
; MemoryBound: 0
; FloatMode: 240
; IeeeMode: 1
; LDSByteSize: 0 bytes/workgroup (compile time only)
; SGPRBlocks: 1
; VGPRBlocks: 0
; NumSGPRsForWavesPerEU: 14
; NumVGPRsForWavesPerEU: 4
; AccumOffset: 4
; Occupancy: 8
; WaveLimiterHint : 0
; COMPUTE_PGM_RSRC2:SCRATCH_EN: 0
; COMPUTE_PGM_RSRC2:USER_SGPR: 2
; COMPUTE_PGM_RSRC2:TRAP_HANDLER: 0
; COMPUTE_PGM_RSRC2:TGID_X_EN: 1
; COMPUTE_PGM_RSRC2:TGID_Y_EN: 0
; COMPUTE_PGM_RSRC2:TGID_Z_EN: 0
; COMPUTE_PGM_RSRC2:TIDIG_COMP_CNT: 0
; COMPUTE_PGM_RSRC3_GFX90A:ACCUM_OFFSET: 0
; COMPUTE_PGM_RSRC3_GFX90A:TG_SPLIT: 0
	.section	.text._Z4Add4IfEvPT_iS0_,"axG",@progbits,_Z4Add4IfEvPT_iS0_,comdat
	.protected	_Z4Add4IfEvPT_iS0_      ; -- Begin function _Z4Add4IfEvPT_iS0_
	.globl	_Z4Add4IfEvPT_iS0_
	.p2align	8
	.type	_Z4Add4IfEvPT_iS0_,@function
_Z4Add4IfEvPT_iS0_:                     ; @_Z4Add4IfEvPT_iS0_
; %bb.0:
	s_load_dword s3, s[0:1], 0x1c
	s_load_dwordx4 s[4:7], s[0:1], 0x0
	s_waitcnt lgkmcnt(0)
	s_and_b32 s0, s3, 0xffff
	s_mul_i32 s2, s2, s0
	v_add_u32_e32 v0, s2, v0
	v_ashrrev_i32_e32 v1, 31, v0
	v_lshl_add_u64 v[0:1], v[0:1], 2, s[4:5]
	global_load_dword v2, v[0:1], off
	s_mov_b32 s0, 0x41200000
	s_mov_b32 s1, 0x41100000
	s_cmp_lt_i32 s6, 1
	s_waitcnt vmcnt(0)
	v_pk_add_f32 v[4:5], v[2:3], s[0:1] op_sel_hi:[0,1] neg_lo:[1,0] neg_hi:[1,0]
	v_sub_f32_e32 v3, 0x41100000, v4
	s_cbranch_scc1 .LBB2_3
; %bb.1:
	s_mov_b32 s0, s7
	s_mov_b32 s1, s7
.LBB2_2:                                ; =>This Inner Loop Header: Depth=1
	v_pk_add_f32 v[2:3], s[0:1], v[2:3] neg_lo:[0,1] neg_hi:[0,1]
	v_pk_add_f32 v[4:5], s[0:1], v[4:5] neg_lo:[0,1] neg_hi:[0,1]
	;; [unrolled: 1-line block ×118, first 2 shown]
	s_add_i32 s6, s6, -1
	v_pk_add_f32 v[4:5], s[0:1], v[4:5] neg_lo:[0,1] neg_hi:[0,1]
	s_cmp_eq_u32 s6, 0
	v_pk_add_f32 v[2:3], s[0:1], v[2:3] neg_lo:[0,1] neg_hi:[0,1]
	s_cbranch_scc0 .LBB2_2
.LBB2_3:
	v_pk_add_f32 v[2:3], v[2:3], v[4:5]
	s_nop 0
	v_add_f32_e32 v2, v2, v3
	global_store_dword v[0:1], v2, off
	s_endpgm
	.section	.rodata,"a",@progbits
	.p2align	6, 0x0
	.amdhsa_kernel _Z4Add4IfEvPT_iS0_
		.amdhsa_group_segment_fixed_size 0
		.amdhsa_private_segment_fixed_size 0
		.amdhsa_kernarg_size 272
		.amdhsa_user_sgpr_count 2
		.amdhsa_user_sgpr_dispatch_ptr 0
		.amdhsa_user_sgpr_queue_ptr 0
		.amdhsa_user_sgpr_kernarg_segment_ptr 1
		.amdhsa_user_sgpr_dispatch_id 0
		.amdhsa_user_sgpr_kernarg_preload_length 0
		.amdhsa_user_sgpr_kernarg_preload_offset 0
		.amdhsa_user_sgpr_private_segment_size 0
		.amdhsa_uses_dynamic_stack 0
		.amdhsa_enable_private_segment 0
		.amdhsa_system_sgpr_workgroup_id_x 1
		.amdhsa_system_sgpr_workgroup_id_y 0
		.amdhsa_system_sgpr_workgroup_id_z 0
		.amdhsa_system_sgpr_workgroup_info 0
		.amdhsa_system_vgpr_workitem_id 0
		.amdhsa_next_free_vgpr 6
		.amdhsa_next_free_sgpr 8
		.amdhsa_accum_offset 8
		.amdhsa_reserve_vcc 0
		.amdhsa_float_round_mode_32 0
		.amdhsa_float_round_mode_16_64 0
		.amdhsa_float_denorm_mode_32 3
		.amdhsa_float_denorm_mode_16_64 3
		.amdhsa_dx10_clamp 1
		.amdhsa_ieee_mode 1
		.amdhsa_fp16_overflow 0
		.amdhsa_tg_split 0
		.amdhsa_exception_fp_ieee_invalid_op 0
		.amdhsa_exception_fp_denorm_src 0
		.amdhsa_exception_fp_ieee_div_zero 0
		.amdhsa_exception_fp_ieee_overflow 0
		.amdhsa_exception_fp_ieee_underflow 0
		.amdhsa_exception_fp_ieee_inexact 0
		.amdhsa_exception_int_div_zero 0
	.end_amdhsa_kernel
	.section	.text._Z4Add4IfEvPT_iS0_,"axG",@progbits,_Z4Add4IfEvPT_iS0_,comdat
.Lfunc_end2:
	.size	_Z4Add4IfEvPT_iS0_, .Lfunc_end2-_Z4Add4IfEvPT_iS0_
                                        ; -- End function
	.set _Z4Add4IfEvPT_iS0_.num_vgpr, 6
	.set _Z4Add4IfEvPT_iS0_.num_agpr, 0
	.set _Z4Add4IfEvPT_iS0_.numbered_sgpr, 8
	.set _Z4Add4IfEvPT_iS0_.num_named_barrier, 0
	.set _Z4Add4IfEvPT_iS0_.private_seg_size, 0
	.set _Z4Add4IfEvPT_iS0_.uses_vcc, 0
	.set _Z4Add4IfEvPT_iS0_.uses_flat_scratch, 0
	.set _Z4Add4IfEvPT_iS0_.has_dyn_sized_stack, 0
	.set _Z4Add4IfEvPT_iS0_.has_recursion, 0
	.set _Z4Add4IfEvPT_iS0_.has_indirect_call, 0
	.section	.AMDGPU.csdata,"",@progbits
; Kernel info:
; codeLenInByte = 1108
; TotalNumSgprs: 14
; NumVgprs: 6
; NumAgprs: 0
; TotalNumVgprs: 6
; ScratchSize: 0
; MemoryBound: 0
; FloatMode: 240
; IeeeMode: 1
; LDSByteSize: 0 bytes/workgroup (compile time only)
; SGPRBlocks: 1
; VGPRBlocks: 0
; NumSGPRsForWavesPerEU: 14
; NumVGPRsForWavesPerEU: 6
; AccumOffset: 8
; Occupancy: 8
; WaveLimiterHint : 0
; COMPUTE_PGM_RSRC2:SCRATCH_EN: 0
; COMPUTE_PGM_RSRC2:USER_SGPR: 2
; COMPUTE_PGM_RSRC2:TRAP_HANDLER: 0
; COMPUTE_PGM_RSRC2:TGID_X_EN: 1
; COMPUTE_PGM_RSRC2:TGID_Y_EN: 0
; COMPUTE_PGM_RSRC2:TGID_Z_EN: 0
; COMPUTE_PGM_RSRC2:TIDIG_COMP_CNT: 0
; COMPUTE_PGM_RSRC3_GFX90A:ACCUM_OFFSET: 1
; COMPUTE_PGM_RSRC3_GFX90A:TG_SPLIT: 0
	.section	.text._Z4Add8IfEvPT_iS0_,"axG",@progbits,_Z4Add8IfEvPT_iS0_,comdat
	.protected	_Z4Add8IfEvPT_iS0_      ; -- Begin function _Z4Add8IfEvPT_iS0_
	.globl	_Z4Add8IfEvPT_iS0_
	.p2align	8
	.type	_Z4Add8IfEvPT_iS0_,@function
_Z4Add8IfEvPT_iS0_:                     ; @_Z4Add8IfEvPT_iS0_
; %bb.0:
	s_load_dword s3, s[0:1], 0x1c
	s_load_dwordx4 s[4:7], s[0:1], 0x0
	s_waitcnt lgkmcnt(0)
	s_and_b32 s0, s3, 0xffff
	s_mul_i32 s2, s2, s0
	v_add_u32_e32 v0, s2, v0
	v_ashrrev_i32_e32 v1, 31, v0
	v_lshl_add_u64 v[0:1], v[0:1], 2, s[4:5]
	global_load_dword v2, v[0:1], off
	s_mov_b32 s0, 0x41200000
	s_mov_b32 s1, 0x41100000
	;; [unrolled: 1-line block ×6, first 2 shown]
	s_cmp_lt_i32 s6, 1
	s_waitcnt vmcnt(0)
	v_pk_add_f32 v[4:5], v[2:3], s[0:1] op_sel_hi:[0,1] neg_lo:[1,0] neg_hi:[1,0]
	v_mov_b32_e32 v7, v2
	v_mov_b32_e32 v6, v4
	v_pk_add_f32 v[8:9], v[6:7], s[2:3] neg_lo:[1,0] neg_hi:[1,0]
	v_pk_add_f32 v[6:7], v[6:7], s[4:5] neg_lo:[1,0] neg_hi:[1,0]
	v_sub_f32_e32 v3, 0x40e00000, v4
	s_cbranch_scc1 .LBB3_3
; %bb.1:
	s_mov_b32 s0, s7
	s_mov_b32 s1, s7
.LBB3_2:                                ; =>This Inner Loop Header: Depth=1
	v_pk_add_f32 v[2:3], s[0:1], v[2:3] neg_lo:[0,1] neg_hi:[0,1]
	v_pk_add_f32 v[4:5], s[0:1], v[4:5] neg_lo:[0,1] neg_hi:[0,1]
	;; [unrolled: 1-line block ×116, first 2 shown]
	s_add_i32 s6, s6, -1
	v_pk_add_f32 v[4:5], s[0:1], v[4:5] neg_lo:[0,1] neg_hi:[0,1]
	v_pk_add_f32 v[8:9], s[0:1], v[8:9] neg_lo:[0,1] neg_hi:[0,1]
	;; [unrolled: 1-line block ×3, first 2 shown]
	s_cmp_eq_u32 s6, 0
	v_pk_add_f32 v[2:3], s[0:1], v[2:3] neg_lo:[0,1] neg_hi:[0,1]
	s_cbranch_scc0 .LBB3_2
.LBB3_3:
	v_pk_mov_b32 v[10:11], v[4:5], v[6:7] op_sel:[1,0]
	v_mov_b32_e32 v5, v7
	v_pk_add_f32 v[8:9], v[8:9], v[10:11]
	v_pk_add_f32 v[2:3], v[2:3], v[4:5]
	s_nop 0
	v_pk_add_f32 v[2:3], v[8:9], v[2:3]
	s_nop 0
	v_add_f32_e32 v2, v2, v3
	global_store_dword v[0:1], v2, off
	s_endpgm
	.section	.rodata,"a",@progbits
	.p2align	6, 0x0
	.amdhsa_kernel _Z4Add8IfEvPT_iS0_
		.amdhsa_group_segment_fixed_size 0
		.amdhsa_private_segment_fixed_size 0
		.amdhsa_kernarg_size 272
		.amdhsa_user_sgpr_count 2
		.amdhsa_user_sgpr_dispatch_ptr 0
		.amdhsa_user_sgpr_queue_ptr 0
		.amdhsa_user_sgpr_kernarg_segment_ptr 1
		.amdhsa_user_sgpr_dispatch_id 0
		.amdhsa_user_sgpr_kernarg_preload_length 0
		.amdhsa_user_sgpr_kernarg_preload_offset 0
		.amdhsa_user_sgpr_private_segment_size 0
		.amdhsa_uses_dynamic_stack 0
		.amdhsa_enable_private_segment 0
		.amdhsa_system_sgpr_workgroup_id_x 1
		.amdhsa_system_sgpr_workgroup_id_y 0
		.amdhsa_system_sgpr_workgroup_id_z 0
		.amdhsa_system_sgpr_workgroup_info 0
		.amdhsa_system_vgpr_workitem_id 0
		.amdhsa_next_free_vgpr 12
		.amdhsa_next_free_sgpr 8
		.amdhsa_accum_offset 12
		.amdhsa_reserve_vcc 0
		.amdhsa_float_round_mode_32 0
		.amdhsa_float_round_mode_16_64 0
		.amdhsa_float_denorm_mode_32 3
		.amdhsa_float_denorm_mode_16_64 3
		.amdhsa_dx10_clamp 1
		.amdhsa_ieee_mode 1
		.amdhsa_fp16_overflow 0
		.amdhsa_tg_split 0
		.amdhsa_exception_fp_ieee_invalid_op 0
		.amdhsa_exception_fp_denorm_src 0
		.amdhsa_exception_fp_ieee_div_zero 0
		.amdhsa_exception_fp_ieee_overflow 0
		.amdhsa_exception_fp_ieee_underflow 0
		.amdhsa_exception_fp_ieee_inexact 0
		.amdhsa_exception_int_div_zero 0
	.end_amdhsa_kernel
	.section	.text._Z4Add8IfEvPT_iS0_,"axG",@progbits,_Z4Add8IfEvPT_iS0_,comdat
.Lfunc_end3:
	.size	_Z4Add8IfEvPT_iS0_, .Lfunc_end3-_Z4Add8IfEvPT_iS0_
                                        ; -- End function
	.set _Z4Add8IfEvPT_iS0_.num_vgpr, 12
	.set _Z4Add8IfEvPT_iS0_.num_agpr, 0
	.set _Z4Add8IfEvPT_iS0_.numbered_sgpr, 8
	.set _Z4Add8IfEvPT_iS0_.num_named_barrier, 0
	.set _Z4Add8IfEvPT_iS0_.private_seg_size, 0
	.set _Z4Add8IfEvPT_iS0_.uses_vcc, 0
	.set _Z4Add8IfEvPT_iS0_.uses_flat_scratch, 0
	.set _Z4Add8IfEvPT_iS0_.has_dyn_sized_stack, 0
	.set _Z4Add8IfEvPT_iS0_.has_recursion, 0
	.set _Z4Add8IfEvPT_iS0_.has_indirect_call, 0
	.section	.AMDGPU.csdata,"",@progbits
; Kernel info:
; codeLenInByte = 1188
; TotalNumSgprs: 14
; NumVgprs: 12
; NumAgprs: 0
; TotalNumVgprs: 12
; ScratchSize: 0
; MemoryBound: 0
; FloatMode: 240
; IeeeMode: 1
; LDSByteSize: 0 bytes/workgroup (compile time only)
; SGPRBlocks: 1
; VGPRBlocks: 1
; NumSGPRsForWavesPerEU: 14
; NumVGPRsForWavesPerEU: 12
; AccumOffset: 12
; Occupancy: 8
; WaveLimiterHint : 0
; COMPUTE_PGM_RSRC2:SCRATCH_EN: 0
; COMPUTE_PGM_RSRC2:USER_SGPR: 2
; COMPUTE_PGM_RSRC2:TRAP_HANDLER: 0
; COMPUTE_PGM_RSRC2:TGID_X_EN: 1
; COMPUTE_PGM_RSRC2:TGID_Y_EN: 0
; COMPUTE_PGM_RSRC2:TGID_Z_EN: 0
; COMPUTE_PGM_RSRC2:TIDIG_COMP_CNT: 0
; COMPUTE_PGM_RSRC3_GFX90A:ACCUM_OFFSET: 2
; COMPUTE_PGM_RSRC3_GFX90A:TG_SPLIT: 0
	.section	.text._Z4Mul1IfEvPT_iS0_,"axG",@progbits,_Z4Mul1IfEvPT_iS0_,comdat
	.protected	_Z4Mul1IfEvPT_iS0_      ; -- Begin function _Z4Mul1IfEvPT_iS0_
	.globl	_Z4Mul1IfEvPT_iS0_
	.p2align	8
	.type	_Z4Mul1IfEvPT_iS0_,@function
_Z4Mul1IfEvPT_iS0_:                     ; @_Z4Mul1IfEvPT_iS0_
; %bb.0:
	s_load_dword s3, s[0:1], 0x1c
	s_load_dwordx4 s[4:7], s[0:1], 0x0
	s_waitcnt lgkmcnt(0)
	s_and_b32 s0, s3, 0xffff
	s_mul_i32 s2, s2, s0
	v_add_u32_e32 v0, s2, v0
	v_ashrrev_i32_e32 v1, 31, v0
	v_lshl_add_u64 v[0:1], v[0:1], 2, s[4:5]
	global_load_dword v2, v[0:1], off
	s_cmp_lt_i32 s6, 1
	s_waitcnt vmcnt(0)
	v_sub_f32_e32 v2, v2, v2
	v_add_f32_e32 v2, 0x3f7fbe77, v2
	s_cbranch_scc1 .LBB4_2
.LBB4_1:                                ; =>This Inner Loop Header: Depth=1
	v_mul_f32_e32 v2, v2, v2
	v_mul_f32_e32 v2, s7, v2
	;; [unrolled: 1-line block ×399, first 2 shown]
	s_add_i32 s6, s6, -1
	s_cmp_eq_u32 s6, 0
	v_mul_f32_e32 v2, s7, v2
	s_cbranch_scc0 .LBB4_1
.LBB4_2:
	global_store_dword v[0:1], v2, off
	s_endpgm
	.section	.rodata,"a",@progbits
	.p2align	6, 0x0
	.amdhsa_kernel _Z4Mul1IfEvPT_iS0_
		.amdhsa_group_segment_fixed_size 0
		.amdhsa_private_segment_fixed_size 0
		.amdhsa_kernarg_size 272
		.amdhsa_user_sgpr_count 2
		.amdhsa_user_sgpr_dispatch_ptr 0
		.amdhsa_user_sgpr_queue_ptr 0
		.amdhsa_user_sgpr_kernarg_segment_ptr 1
		.amdhsa_user_sgpr_dispatch_id 0
		.amdhsa_user_sgpr_kernarg_preload_length 0
		.amdhsa_user_sgpr_kernarg_preload_offset 0
		.amdhsa_user_sgpr_private_segment_size 0
		.amdhsa_uses_dynamic_stack 0
		.amdhsa_enable_private_segment 0
		.amdhsa_system_sgpr_workgroup_id_x 1
		.amdhsa_system_sgpr_workgroup_id_y 0
		.amdhsa_system_sgpr_workgroup_id_z 0
		.amdhsa_system_sgpr_workgroup_info 0
		.amdhsa_system_vgpr_workitem_id 0
		.amdhsa_next_free_vgpr 3
		.amdhsa_next_free_sgpr 8
		.amdhsa_accum_offset 4
		.amdhsa_reserve_vcc 0
		.amdhsa_float_round_mode_32 0
		.amdhsa_float_round_mode_16_64 0
		.amdhsa_float_denorm_mode_32 3
		.amdhsa_float_denorm_mode_16_64 3
		.amdhsa_dx10_clamp 1
		.amdhsa_ieee_mode 1
		.amdhsa_fp16_overflow 0
		.amdhsa_tg_split 0
		.amdhsa_exception_fp_ieee_invalid_op 0
		.amdhsa_exception_fp_denorm_src 0
		.amdhsa_exception_fp_ieee_div_zero 0
		.amdhsa_exception_fp_ieee_overflow 0
		.amdhsa_exception_fp_ieee_underflow 0
		.amdhsa_exception_fp_ieee_inexact 0
		.amdhsa_exception_int_div_zero 0
	.end_amdhsa_kernel
	.section	.text._Z4Mul1IfEvPT_iS0_,"axG",@progbits,_Z4Mul1IfEvPT_iS0_,comdat
.Lfunc_end4:
	.size	_Z4Mul1IfEvPT_iS0_, .Lfunc_end4-_Z4Mul1IfEvPT_iS0_
                                        ; -- End function
	.set _Z4Mul1IfEvPT_iS0_.num_vgpr, 3
	.set _Z4Mul1IfEvPT_iS0_.num_agpr, 0
	.set _Z4Mul1IfEvPT_iS0_.numbered_sgpr, 8
	.set _Z4Mul1IfEvPT_iS0_.num_named_barrier, 0
	.set _Z4Mul1IfEvPT_iS0_.private_seg_size, 0
	.set _Z4Mul1IfEvPT_iS0_.uses_vcc, 0
	.set _Z4Mul1IfEvPT_iS0_.uses_flat_scratch, 0
	.set _Z4Mul1IfEvPT_iS0_.has_dyn_sized_stack, 0
	.set _Z4Mul1IfEvPT_iS0_.has_recursion, 0
	.set _Z4Mul1IfEvPT_iS0_.has_indirect_call, 0
	.section	.AMDGPU.csdata,"",@progbits
; Kernel info:
; codeLenInByte = 1704
; TotalNumSgprs: 14
; NumVgprs: 3
; NumAgprs: 0
; TotalNumVgprs: 3
; ScratchSize: 0
; MemoryBound: 0
; FloatMode: 240
; IeeeMode: 1
; LDSByteSize: 0 bytes/workgroup (compile time only)
; SGPRBlocks: 1
; VGPRBlocks: 0
; NumSGPRsForWavesPerEU: 14
; NumVGPRsForWavesPerEU: 3
; AccumOffset: 4
; Occupancy: 8
; WaveLimiterHint : 0
; COMPUTE_PGM_RSRC2:SCRATCH_EN: 0
; COMPUTE_PGM_RSRC2:USER_SGPR: 2
; COMPUTE_PGM_RSRC2:TRAP_HANDLER: 0
; COMPUTE_PGM_RSRC2:TGID_X_EN: 1
; COMPUTE_PGM_RSRC2:TGID_Y_EN: 0
; COMPUTE_PGM_RSRC2:TGID_Z_EN: 0
; COMPUTE_PGM_RSRC2:TIDIG_COMP_CNT: 0
; COMPUTE_PGM_RSRC3_GFX90A:ACCUM_OFFSET: 0
; COMPUTE_PGM_RSRC3_GFX90A:TG_SPLIT: 0
	.section	.text._Z4Mul2IfEvPT_iS0_,"axG",@progbits,_Z4Mul2IfEvPT_iS0_,comdat
	.protected	_Z4Mul2IfEvPT_iS0_      ; -- Begin function _Z4Mul2IfEvPT_iS0_
	.globl	_Z4Mul2IfEvPT_iS0_
	.p2align	8
	.type	_Z4Mul2IfEvPT_iS0_,@function
_Z4Mul2IfEvPT_iS0_:                     ; @_Z4Mul2IfEvPT_iS0_
; %bb.0:
	s_load_dword s3, s[0:1], 0x1c
	s_load_dwordx4 s[4:7], s[0:1], 0x0
	s_waitcnt lgkmcnt(0)
	s_and_b32 s0, s3, 0xffff
	s_mul_i32 s2, s2, s0
	v_add_u32_e32 v0, s2, v0
	v_ashrrev_i32_e32 v1, 31, v0
	v_lshl_add_u64 v[0:1], v[0:1], 2, s[4:5]
	global_load_dword v2, v[0:1], off
	s_cmp_lt_i32 s6, 1
	s_waitcnt vmcnt(0)
	v_sub_f32_e32 v2, v2, v2
	v_add_f32_e32 v2, 0x3f7fbe77, v2
	v_add_f32_e32 v3, 0xb8d1b717, v2
	s_cbranch_scc1 .LBB5_3
; %bb.1:
	s_mov_b32 s0, s7
	s_mov_b32 s1, s7
.LBB5_2:                                ; =>This Inner Loop Header: Depth=1
	v_pk_mul_f32 v[2:3], v[2:3], v[2:3]
	s_add_i32 s6, s6, -1
	v_pk_mul_f32 v[2:3], s[0:1], v[2:3]
	s_cmp_eq_u32 s6, 0
	v_pk_mul_f32 v[2:3], v[2:3], v[2:3]
	s_nop 0
	v_pk_mul_f32 v[2:3], s[0:1], v[2:3]
	s_nop 0
	;; [unrolled: 2-line block ×197, first 2 shown]
	v_pk_mul_f32 v[2:3], s[0:1], v[2:3]
	s_cbranch_scc0 .LBB5_2
.LBB5_3:
	v_add_f32_e32 v2, v2, v3
	global_store_dword v[0:1], v2, off
	s_endpgm
	.section	.rodata,"a",@progbits
	.p2align	6, 0x0
	.amdhsa_kernel _Z4Mul2IfEvPT_iS0_
		.amdhsa_group_segment_fixed_size 0
		.amdhsa_private_segment_fixed_size 0
		.amdhsa_kernarg_size 272
		.amdhsa_user_sgpr_count 2
		.amdhsa_user_sgpr_dispatch_ptr 0
		.amdhsa_user_sgpr_queue_ptr 0
		.amdhsa_user_sgpr_kernarg_segment_ptr 1
		.amdhsa_user_sgpr_dispatch_id 0
		.amdhsa_user_sgpr_kernarg_preload_length 0
		.amdhsa_user_sgpr_kernarg_preload_offset 0
		.amdhsa_user_sgpr_private_segment_size 0
		.amdhsa_uses_dynamic_stack 0
		.amdhsa_enable_private_segment 0
		.amdhsa_system_sgpr_workgroup_id_x 1
		.amdhsa_system_sgpr_workgroup_id_y 0
		.amdhsa_system_sgpr_workgroup_id_z 0
		.amdhsa_system_sgpr_workgroup_info 0
		.amdhsa_system_vgpr_workitem_id 0
		.amdhsa_next_free_vgpr 4
		.amdhsa_next_free_sgpr 8
		.amdhsa_accum_offset 4
		.amdhsa_reserve_vcc 0
		.amdhsa_float_round_mode_32 0
		.amdhsa_float_round_mode_16_64 0
		.amdhsa_float_denorm_mode_32 3
		.amdhsa_float_denorm_mode_16_64 3
		.amdhsa_dx10_clamp 1
		.amdhsa_ieee_mode 1
		.amdhsa_fp16_overflow 0
		.amdhsa_tg_split 0
		.amdhsa_exception_fp_ieee_invalid_op 0
		.amdhsa_exception_fp_denorm_src 0
		.amdhsa_exception_fp_ieee_div_zero 0
		.amdhsa_exception_fp_ieee_overflow 0
		.amdhsa_exception_fp_ieee_underflow 0
		.amdhsa_exception_fp_ieee_inexact 0
		.amdhsa_exception_int_div_zero 0
	.end_amdhsa_kernel
	.section	.text._Z4Mul2IfEvPT_iS0_,"axG",@progbits,_Z4Mul2IfEvPT_iS0_,comdat
.Lfunc_end5:
	.size	_Z4Mul2IfEvPT_iS0_, .Lfunc_end5-_Z4Mul2IfEvPT_iS0_
                                        ; -- End function
	.set _Z4Mul2IfEvPT_iS0_.num_vgpr, 4
	.set _Z4Mul2IfEvPT_iS0_.num_agpr, 0
	.set _Z4Mul2IfEvPT_iS0_.numbered_sgpr, 8
	.set _Z4Mul2IfEvPT_iS0_.num_named_barrier, 0
	.set _Z4Mul2IfEvPT_iS0_.private_seg_size, 0
	.set _Z4Mul2IfEvPT_iS0_.uses_vcc, 0
	.set _Z4Mul2IfEvPT_iS0_.uses_flat_scratch, 0
	.set _Z4Mul2IfEvPT_iS0_.has_dyn_sized_stack, 0
	.set _Z4Mul2IfEvPT_iS0_.has_recursion, 0
	.set _Z4Mul2IfEvPT_iS0_.has_indirect_call, 0
	.section	.AMDGPU.csdata,"",@progbits
; Kernel info:
; codeLenInByte = 2512
; TotalNumSgprs: 14
; NumVgprs: 4
; NumAgprs: 0
; TotalNumVgprs: 4
; ScratchSize: 0
; MemoryBound: 0
; FloatMode: 240
; IeeeMode: 1
; LDSByteSize: 0 bytes/workgroup (compile time only)
; SGPRBlocks: 1
; VGPRBlocks: 0
; NumSGPRsForWavesPerEU: 14
; NumVGPRsForWavesPerEU: 4
; AccumOffset: 4
; Occupancy: 8
; WaveLimiterHint : 0
; COMPUTE_PGM_RSRC2:SCRATCH_EN: 0
; COMPUTE_PGM_RSRC2:USER_SGPR: 2
; COMPUTE_PGM_RSRC2:TRAP_HANDLER: 0
; COMPUTE_PGM_RSRC2:TGID_X_EN: 1
; COMPUTE_PGM_RSRC2:TGID_Y_EN: 0
; COMPUTE_PGM_RSRC2:TGID_Z_EN: 0
; COMPUTE_PGM_RSRC2:TIDIG_COMP_CNT: 0
; COMPUTE_PGM_RSRC3_GFX90A:ACCUM_OFFSET: 0
; COMPUTE_PGM_RSRC3_GFX90A:TG_SPLIT: 0
	.section	.text._Z4Mul4IfEvPT_iS0_,"axG",@progbits,_Z4Mul4IfEvPT_iS0_,comdat
	.protected	_Z4Mul4IfEvPT_iS0_      ; -- Begin function _Z4Mul4IfEvPT_iS0_
	.globl	_Z4Mul4IfEvPT_iS0_
	.p2align	8
	.type	_Z4Mul4IfEvPT_iS0_,@function
_Z4Mul4IfEvPT_iS0_:                     ; @_Z4Mul4IfEvPT_iS0_
; %bb.0:
	s_load_dword s3, s[0:1], 0x1c
	s_load_dwordx4 s[4:7], s[0:1], 0x0
	s_waitcnt lgkmcnt(0)
	s_and_b32 s0, s3, 0xffff
	s_mul_i32 s2, s2, s0
	v_add_u32_e32 v0, s2, v0
	v_ashrrev_i32_e32 v1, 31, v0
	v_lshl_add_u64 v[0:1], v[0:1], 2, s[4:5]
	global_load_dword v2, v[0:1], off
	s_mov_b32 s0, 0xb951b717
	s_mov_b32 s1, 0xb99d4952
	s_cmp_lt_i32 s6, 1
	s_waitcnt vmcnt(0)
	v_sub_f32_e32 v2, v2, v2
	v_add_f32_e32 v2, 0x3f7fbe77, v2
	v_add_f32_e32 v3, 0xb8d1b717, v2
	v_pk_add_f32 v[4:5], v[2:3], s[0:1] op_sel_hi:[0,1]
	s_cbranch_scc1 .LBB6_3
; %bb.1:
	s_mov_b32 s0, s7
	s_mov_b32 s1, s7
.LBB6_2:                                ; =>This Inner Loop Header: Depth=1
	v_pk_mul_f32 v[2:3], v[2:3], v[2:3]
	v_pk_mul_f32 v[4:5], v[4:5], v[4:5]
	;; [unrolled: 1-line block ×198, first 2 shown]
	s_add_i32 s6, s6, -1
	v_pk_mul_f32 v[2:3], s[0:1], v[2:3]
	s_cmp_eq_u32 s6, 0
	v_pk_mul_f32 v[4:5], s[0:1], v[4:5]
	s_cbranch_scc0 .LBB6_2
.LBB6_3:
	v_mov_b32_e32 v6, v2
	v_mov_b32_e32 v7, v4
	v_mov_b32_e32 v4, v3
	v_pk_add_f32 v[2:3], v[6:7], v[4:5]
	s_nop 0
	v_add_f32_e32 v2, v2, v3
	global_store_dword v[0:1], v2, off
	s_endpgm
	.section	.rodata,"a",@progbits
	.p2align	6, 0x0
	.amdhsa_kernel _Z4Mul4IfEvPT_iS0_
		.amdhsa_group_segment_fixed_size 0
		.amdhsa_private_segment_fixed_size 0
		.amdhsa_kernarg_size 272
		.amdhsa_user_sgpr_count 2
		.amdhsa_user_sgpr_dispatch_ptr 0
		.amdhsa_user_sgpr_queue_ptr 0
		.amdhsa_user_sgpr_kernarg_segment_ptr 1
		.amdhsa_user_sgpr_dispatch_id 0
		.amdhsa_user_sgpr_kernarg_preload_length 0
		.amdhsa_user_sgpr_kernarg_preload_offset 0
		.amdhsa_user_sgpr_private_segment_size 0
		.amdhsa_uses_dynamic_stack 0
		.amdhsa_enable_private_segment 0
		.amdhsa_system_sgpr_workgroup_id_x 1
		.amdhsa_system_sgpr_workgroup_id_y 0
		.amdhsa_system_sgpr_workgroup_id_z 0
		.amdhsa_system_sgpr_workgroup_info 0
		.amdhsa_system_vgpr_workitem_id 0
		.amdhsa_next_free_vgpr 8
		.amdhsa_next_free_sgpr 8
		.amdhsa_accum_offset 8
		.amdhsa_reserve_vcc 0
		.amdhsa_float_round_mode_32 0
		.amdhsa_float_round_mode_16_64 0
		.amdhsa_float_denorm_mode_32 3
		.amdhsa_float_denorm_mode_16_64 3
		.amdhsa_dx10_clamp 1
		.amdhsa_ieee_mode 1
		.amdhsa_fp16_overflow 0
		.amdhsa_tg_split 0
		.amdhsa_exception_fp_ieee_invalid_op 0
		.amdhsa_exception_fp_denorm_src 0
		.amdhsa_exception_fp_ieee_div_zero 0
		.amdhsa_exception_fp_ieee_overflow 0
		.amdhsa_exception_fp_ieee_underflow 0
		.amdhsa_exception_fp_ieee_inexact 0
		.amdhsa_exception_int_div_zero 0
	.end_amdhsa_kernel
	.section	.text._Z4Mul4IfEvPT_iS0_,"axG",@progbits,_Z4Mul4IfEvPT_iS0_,comdat
.Lfunc_end6:
	.size	_Z4Mul4IfEvPT_iS0_, .Lfunc_end6-_Z4Mul4IfEvPT_iS0_
                                        ; -- End function
	.set _Z4Mul4IfEvPT_iS0_.num_vgpr, 8
	.set _Z4Mul4IfEvPT_iS0_.num_agpr, 0
	.set _Z4Mul4IfEvPT_iS0_.numbered_sgpr, 8
	.set _Z4Mul4IfEvPT_iS0_.num_named_barrier, 0
	.set _Z4Mul4IfEvPT_iS0_.private_seg_size, 0
	.set _Z4Mul4IfEvPT_iS0_.uses_vcc, 0
	.set _Z4Mul4IfEvPT_iS0_.uses_flat_scratch, 0
	.set _Z4Mul4IfEvPT_iS0_.has_dyn_sized_stack, 0
	.set _Z4Mul4IfEvPT_iS0_.has_recursion, 0
	.set _Z4Mul4IfEvPT_iS0_.has_indirect_call, 0
	.section	.AMDGPU.csdata,"",@progbits
; Kernel info:
; codeLenInByte = 1772
; TotalNumSgprs: 14
; NumVgprs: 8
; NumAgprs: 0
; TotalNumVgprs: 8
; ScratchSize: 0
; MemoryBound: 0
; FloatMode: 240
; IeeeMode: 1
; LDSByteSize: 0 bytes/workgroup (compile time only)
; SGPRBlocks: 1
; VGPRBlocks: 0
; NumSGPRsForWavesPerEU: 14
; NumVGPRsForWavesPerEU: 8
; AccumOffset: 8
; Occupancy: 8
; WaveLimiterHint : 0
; COMPUTE_PGM_RSRC2:SCRATCH_EN: 0
; COMPUTE_PGM_RSRC2:USER_SGPR: 2
; COMPUTE_PGM_RSRC2:TRAP_HANDLER: 0
; COMPUTE_PGM_RSRC2:TGID_X_EN: 1
; COMPUTE_PGM_RSRC2:TGID_Y_EN: 0
; COMPUTE_PGM_RSRC2:TGID_Z_EN: 0
; COMPUTE_PGM_RSRC2:TIDIG_COMP_CNT: 0
; COMPUTE_PGM_RSRC3_GFX90A:ACCUM_OFFSET: 1
; COMPUTE_PGM_RSRC3_GFX90A:TG_SPLIT: 0
	.section	.text._Z4Mul8IfEvPT_iS0_,"axG",@progbits,_Z4Mul8IfEvPT_iS0_,comdat
	.protected	_Z4Mul8IfEvPT_iS0_      ; -- Begin function _Z4Mul8IfEvPT_iS0_
	.globl	_Z4Mul8IfEvPT_iS0_
	.p2align	8
	.type	_Z4Mul8IfEvPT_iS0_,@function
_Z4Mul8IfEvPT_iS0_:                     ; @_Z4Mul8IfEvPT_iS0_
; %bb.0:
	s_load_dword s3, s[0:1], 0x1c
	s_load_dwordx4 s[4:7], s[0:1], 0x0
	s_waitcnt lgkmcnt(0)
	s_and_b32 s0, s3, 0xffff
	s_mul_i32 s2, s2, s0
	v_add_u32_e32 v0, s2, v0
	v_ashrrev_i32_e32 v1, 31, v0
	v_lshl_add_u64 v[0:1], v[0:1], 2, s[4:5]
	global_load_dword v2, v[0:1], off
	s_mov_b32 s0, 0xb951b717
	s_mov_b32 s2, 0xb9d1b717
	;; [unrolled: 1-line block ×6, first 2 shown]
	s_cmp_lt_i32 s6, 1
	s_waitcnt vmcnt(0)
	v_sub_f32_e32 v2, v2, v2
	v_add_f32_e32 v2, 0x3f7fbe77, v2
	v_add_f32_e32 v3, 0xb8d1b717, v2
	v_pk_add_f32 v[4:5], v[2:3], s[0:1] op_sel_hi:[0,1]
	v_pk_add_f32 v[6:7], v[2:3], s[2:3] op_sel_hi:[0,1]
	;; [unrolled: 1-line block ×3, first 2 shown]
	s_cbranch_scc1 .LBB7_3
; %bb.1:
	s_mov_b32 s0, s7
	s_mov_b32 s1, s7
.LBB7_2:                                ; =>This Inner Loop Header: Depth=1
	v_pk_mul_f32 v[2:3], v[2:3], v[2:3]
	v_pk_mul_f32 v[4:5], v[4:5], v[4:5]
	;; [unrolled: 1-line block ×196, first 2 shown]
	s_add_i32 s6, s6, -1
	v_pk_mul_f32 v[2:3], s[0:1], v[2:3]
	v_pk_mul_f32 v[4:5], s[0:1], v[4:5]
	v_pk_mul_f32 v[6:7], s[0:1], v[6:7]
	s_cmp_eq_u32 s6, 0
	v_pk_mul_f32 v[8:9], s[0:1], v[8:9]
	s_cbranch_scc0 .LBB7_2
.LBB7_3:
	v_mov_b32_e32 v10, v2
	v_mov_b32_e32 v11, v6
	;; [unrolled: 1-line block ×3, first 2 shown]
	v_pk_add_f32 v[2:3], v[10:11], v[6:7]
	v_mov_b32_e32 v6, v4
	v_mov_b32_e32 v7, v8
	;; [unrolled: 1-line block ×3, first 2 shown]
	v_pk_add_f32 v[4:5], v[6:7], v[8:9]
	s_nop 0
	v_pk_add_f32 v[2:3], v[2:3], v[4:5]
	s_nop 0
	v_add_f32_e32 v2, v2, v3
	global_store_dword v[0:1], v2, off
	s_endpgm
	.section	.rodata,"a",@progbits
	.p2align	6, 0x0
	.amdhsa_kernel _Z4Mul8IfEvPT_iS0_
		.amdhsa_group_segment_fixed_size 0
		.amdhsa_private_segment_fixed_size 0
		.amdhsa_kernarg_size 272
		.amdhsa_user_sgpr_count 2
		.amdhsa_user_sgpr_dispatch_ptr 0
		.amdhsa_user_sgpr_queue_ptr 0
		.amdhsa_user_sgpr_kernarg_segment_ptr 1
		.amdhsa_user_sgpr_dispatch_id 0
		.amdhsa_user_sgpr_kernarg_preload_length 0
		.amdhsa_user_sgpr_kernarg_preload_offset 0
		.amdhsa_user_sgpr_private_segment_size 0
		.amdhsa_uses_dynamic_stack 0
		.amdhsa_enable_private_segment 0
		.amdhsa_system_sgpr_workgroup_id_x 1
		.amdhsa_system_sgpr_workgroup_id_y 0
		.amdhsa_system_sgpr_workgroup_id_z 0
		.amdhsa_system_sgpr_workgroup_info 0
		.amdhsa_system_vgpr_workitem_id 0
		.amdhsa_next_free_vgpr 12
		.amdhsa_next_free_sgpr 8
		.amdhsa_accum_offset 12
		.amdhsa_reserve_vcc 0
		.amdhsa_float_round_mode_32 0
		.amdhsa_float_round_mode_16_64 0
		.amdhsa_float_denorm_mode_32 3
		.amdhsa_float_denorm_mode_16_64 3
		.amdhsa_dx10_clamp 1
		.amdhsa_ieee_mode 1
		.amdhsa_fp16_overflow 0
		.amdhsa_tg_split 0
		.amdhsa_exception_fp_ieee_invalid_op 0
		.amdhsa_exception_fp_denorm_src 0
		.amdhsa_exception_fp_ieee_div_zero 0
		.amdhsa_exception_fp_ieee_overflow 0
		.amdhsa_exception_fp_ieee_underflow 0
		.amdhsa_exception_fp_ieee_inexact 0
		.amdhsa_exception_int_div_zero 0
	.end_amdhsa_kernel
	.section	.text._Z4Mul8IfEvPT_iS0_,"axG",@progbits,_Z4Mul8IfEvPT_iS0_,comdat
.Lfunc_end7:
	.size	_Z4Mul8IfEvPT_iS0_, .Lfunc_end7-_Z4Mul8IfEvPT_iS0_
                                        ; -- End function
	.set _Z4Mul8IfEvPT_iS0_.num_vgpr, 12
	.set _Z4Mul8IfEvPT_iS0_.num_agpr, 0
	.set _Z4Mul8IfEvPT_iS0_.numbered_sgpr, 8
	.set _Z4Mul8IfEvPT_iS0_.num_named_barrier, 0
	.set _Z4Mul8IfEvPT_iS0_.private_seg_size, 0
	.set _Z4Mul8IfEvPT_iS0_.uses_vcc, 0
	.set _Z4Mul8IfEvPT_iS0_.uses_flat_scratch, 0
	.set _Z4Mul8IfEvPT_iS0_.has_dyn_sized_stack, 0
	.set _Z4Mul8IfEvPT_iS0_.has_recursion, 0
	.set _Z4Mul8IfEvPT_iS0_.has_indirect_call, 0
	.section	.AMDGPU.csdata,"",@progbits
; Kernel info:
; codeLenInByte = 1852
; TotalNumSgprs: 14
; NumVgprs: 12
; NumAgprs: 0
; TotalNumVgprs: 12
; ScratchSize: 0
; MemoryBound: 0
; FloatMode: 240
; IeeeMode: 1
; LDSByteSize: 0 bytes/workgroup (compile time only)
; SGPRBlocks: 1
; VGPRBlocks: 1
; NumSGPRsForWavesPerEU: 14
; NumVGPRsForWavesPerEU: 12
; AccumOffset: 12
; Occupancy: 8
; WaveLimiterHint : 0
; COMPUTE_PGM_RSRC2:SCRATCH_EN: 0
; COMPUTE_PGM_RSRC2:USER_SGPR: 2
; COMPUTE_PGM_RSRC2:TRAP_HANDLER: 0
; COMPUTE_PGM_RSRC2:TGID_X_EN: 1
; COMPUTE_PGM_RSRC2:TGID_Y_EN: 0
; COMPUTE_PGM_RSRC2:TGID_Z_EN: 0
; COMPUTE_PGM_RSRC2:TIDIG_COMP_CNT: 0
; COMPUTE_PGM_RSRC3_GFX90A:ACCUM_OFFSET: 2
; COMPUTE_PGM_RSRC3_GFX90A:TG_SPLIT: 0
	.section	.text._Z5MAdd1IfEvPT_iS0_S0_,"axG",@progbits,_Z5MAdd1IfEvPT_iS0_S0_,comdat
	.protected	_Z5MAdd1IfEvPT_iS0_S0_  ; -- Begin function _Z5MAdd1IfEvPT_iS0_S0_
	.globl	_Z5MAdd1IfEvPT_iS0_S0_
	.p2align	8
	.type	_Z5MAdd1IfEvPT_iS0_S0_,@function
_Z5MAdd1IfEvPT_iS0_S0_:                 ; @_Z5MAdd1IfEvPT_iS0_S0_
; %bb.0:
	s_load_dword s3, s[0:1], 0x24
	s_load_dwordx2 s[8:9], s[0:1], 0x0
	s_load_dwordx4 s[4:7], s[0:1], 0x8
	s_waitcnt lgkmcnt(0)
	s_and_b32 s0, s3, 0xffff
	s_mul_i32 s2, s2, s0
	v_add_u32_e32 v0, s2, v0
	v_ashrrev_i32_e32 v1, 31, v0
	v_lshl_add_u64 v[0:1], v[0:1], 2, s[8:9]
	global_load_dword v3, v[0:1], off
	s_cmp_lt_i32 s4, 1
	s_cbranch_scc1 .LBB8_3
; %bb.1:
	v_mov_b32_e32 v2, s5
.LBB8_2:                                ; =>This Inner Loop Header: Depth=1
	s_waitcnt vmcnt(0)
	v_fma_f32 v3, -s6, v3, v2
	v_fma_f32 v3, -s6, v3, v2
	v_fma_f32 v3, -s6, v3, v2
	v_fma_f32 v3, -s6, v3, v2
	v_fma_f32 v3, -s6, v3, v2
	v_fma_f32 v3, -s6, v3, v2
	v_fma_f32 v3, -s6, v3, v2
	v_fma_f32 v3, -s6, v3, v2
	v_fma_f32 v3, -s6, v3, v2
	v_fma_f32 v3, -s6, v3, v2
	v_fma_f32 v3, -s6, v3, v2
	v_fma_f32 v3, -s6, v3, v2
	v_fma_f32 v3, -s6, v3, v2
	v_fma_f32 v3, -s6, v3, v2
	v_fma_f32 v3, -s6, v3, v2
	v_fma_f32 v3, -s6, v3, v2
	v_fma_f32 v3, -s6, v3, v2
	v_fma_f32 v3, -s6, v3, v2
	v_fma_f32 v3, -s6, v3, v2
	v_fma_f32 v3, -s6, v3, v2
	v_fma_f32 v3, -s6, v3, v2
	v_fma_f32 v3, -s6, v3, v2
	v_fma_f32 v3, -s6, v3, v2
	v_fma_f32 v3, -s6, v3, v2
	v_fma_f32 v3, -s6, v3, v2
	v_fma_f32 v3, -s6, v3, v2
	v_fma_f32 v3, -s6, v3, v2
	v_fma_f32 v3, -s6, v3, v2
	v_fma_f32 v3, -s6, v3, v2
	v_fma_f32 v3, -s6, v3, v2
	v_fma_f32 v3, -s6, v3, v2
	v_fma_f32 v3, -s6, v3, v2
	v_fma_f32 v3, -s6, v3, v2
	v_fma_f32 v3, -s6, v3, v2
	v_fma_f32 v3, -s6, v3, v2
	v_fma_f32 v3, -s6, v3, v2
	v_fma_f32 v3, -s6, v3, v2
	v_fma_f32 v3, -s6, v3, v2
	v_fma_f32 v3, -s6, v3, v2
	v_fma_f32 v3, -s6, v3, v2
	v_fma_f32 v3, -s6, v3, v2
	v_fma_f32 v3, -s6, v3, v2
	v_fma_f32 v3, -s6, v3, v2
	v_fma_f32 v3, -s6, v3, v2
	v_fma_f32 v3, -s6, v3, v2
	v_fma_f32 v3, -s6, v3, v2
	v_fma_f32 v3, -s6, v3, v2
	v_fma_f32 v3, -s6, v3, v2
	v_fma_f32 v3, -s6, v3, v2
	v_fma_f32 v3, -s6, v3, v2
	v_fma_f32 v3, -s6, v3, v2
	v_fma_f32 v3, -s6, v3, v2
	v_fma_f32 v3, -s6, v3, v2
	v_fma_f32 v3, -s6, v3, v2
	v_fma_f32 v3, -s6, v3, v2
	v_fma_f32 v3, -s6, v3, v2
	v_fma_f32 v3, -s6, v3, v2
	v_fma_f32 v3, -s6, v3, v2
	v_fma_f32 v3, -s6, v3, v2
	v_fma_f32 v3, -s6, v3, v2
	v_fma_f32 v3, -s6, v3, v2
	v_fma_f32 v3, -s6, v3, v2
	v_fma_f32 v3, -s6, v3, v2
	v_fma_f32 v3, -s6, v3, v2
	v_fma_f32 v3, -s6, v3, v2
	v_fma_f32 v3, -s6, v3, v2
	v_fma_f32 v3, -s6, v3, v2
	v_fma_f32 v3, -s6, v3, v2
	v_fma_f32 v3, -s6, v3, v2
	v_fma_f32 v3, -s6, v3, v2
	v_fma_f32 v3, -s6, v3, v2
	v_fma_f32 v3, -s6, v3, v2
	v_fma_f32 v3, -s6, v3, v2
	v_fma_f32 v3, -s6, v3, v2
	v_fma_f32 v3, -s6, v3, v2
	v_fma_f32 v3, -s6, v3, v2
	v_fma_f32 v3, -s6, v3, v2
	v_fma_f32 v3, -s6, v3, v2
	v_fma_f32 v3, -s6, v3, v2
	v_fma_f32 v3, -s6, v3, v2
	v_fma_f32 v3, -s6, v3, v2
	v_fma_f32 v3, -s6, v3, v2
	v_fma_f32 v3, -s6, v3, v2
	v_fma_f32 v3, -s6, v3, v2
	v_fma_f32 v3, -s6, v3, v2
	v_fma_f32 v3, -s6, v3, v2
	v_fma_f32 v3, -s6, v3, v2
	v_fma_f32 v3, -s6, v3, v2
	v_fma_f32 v3, -s6, v3, v2
	v_fma_f32 v3, -s6, v3, v2
	v_fma_f32 v3, -s6, v3, v2
	v_fma_f32 v3, -s6, v3, v2
	v_fma_f32 v3, -s6, v3, v2
	v_fma_f32 v3, -s6, v3, v2
	v_fma_f32 v3, -s6, v3, v2
	v_fma_f32 v3, -s6, v3, v2
	v_fma_f32 v3, -s6, v3, v2
	v_fma_f32 v3, -s6, v3, v2
	v_fma_f32 v3, -s6, v3, v2
	v_fma_f32 v3, -s6, v3, v2
	v_fma_f32 v3, -s6, v3, v2
	v_fma_f32 v3, -s6, v3, v2
	v_fma_f32 v3, -s6, v3, v2
	v_fma_f32 v3, -s6, v3, v2
	v_fma_f32 v3, -s6, v3, v2
	v_fma_f32 v3, -s6, v3, v2
	v_fma_f32 v3, -s6, v3, v2
	v_fma_f32 v3, -s6, v3, v2
	v_fma_f32 v3, -s6, v3, v2
	v_fma_f32 v3, -s6, v3, v2
	v_fma_f32 v3, -s6, v3, v2
	v_fma_f32 v3, -s6, v3, v2
	v_fma_f32 v3, -s6, v3, v2
	v_fma_f32 v3, -s6, v3, v2
	v_fma_f32 v3, -s6, v3, v2
	v_fma_f32 v3, -s6, v3, v2
	v_fma_f32 v3, -s6, v3, v2
	v_fma_f32 v3, -s6, v3, v2
	v_fma_f32 v3, -s6, v3, v2
	v_fma_f32 v3, -s6, v3, v2
	v_fma_f32 v3, -s6, v3, v2
	v_fma_f32 v3, -s6, v3, v2
	v_fma_f32 v3, -s6, v3, v2
	v_fma_f32 v3, -s6, v3, v2
	v_fma_f32 v3, -s6, v3, v2
	v_fma_f32 v3, -s6, v3, v2
	v_fma_f32 v3, -s6, v3, v2
	v_fma_f32 v3, -s6, v3, v2
	v_fma_f32 v3, -s6, v3, v2
	v_fma_f32 v3, -s6, v3, v2
	v_fma_f32 v3, -s6, v3, v2
	v_fma_f32 v3, -s6, v3, v2
	v_fma_f32 v3, -s6, v3, v2
	v_fma_f32 v3, -s6, v3, v2
	v_fma_f32 v3, -s6, v3, v2
	v_fma_f32 v3, -s6, v3, v2
	v_fma_f32 v3, -s6, v3, v2
	v_fma_f32 v3, -s6, v3, v2
	v_fma_f32 v3, -s6, v3, v2
	v_fma_f32 v3, -s6, v3, v2
	v_fma_f32 v3, -s6, v3, v2
	v_fma_f32 v3, -s6, v3, v2
	v_fma_f32 v3, -s6, v3, v2
	v_fma_f32 v3, -s6, v3, v2
	v_fma_f32 v3, -s6, v3, v2
	v_fma_f32 v3, -s6, v3, v2
	v_fma_f32 v3, -s6, v3, v2
	v_fma_f32 v3, -s6, v3, v2
	v_fma_f32 v3, -s6, v3, v2
	v_fma_f32 v3, -s6, v3, v2
	v_fma_f32 v3, -s6, v3, v2
	v_fma_f32 v3, -s6, v3, v2
	v_fma_f32 v3, -s6, v3, v2
	v_fma_f32 v3, -s6, v3, v2
	v_fma_f32 v3, -s6, v3, v2
	v_fma_f32 v3, -s6, v3, v2
	v_fma_f32 v3, -s6, v3, v2
	v_fma_f32 v3, -s6, v3, v2
	v_fma_f32 v3, -s6, v3, v2
	v_fma_f32 v3, -s6, v3, v2
	v_fma_f32 v3, -s6, v3, v2
	v_fma_f32 v3, -s6, v3, v2
	v_fma_f32 v3, -s6, v3, v2
	v_fma_f32 v3, -s6, v3, v2
	v_fma_f32 v3, -s6, v3, v2
	v_fma_f32 v3, -s6, v3, v2
	v_fma_f32 v3, -s6, v3, v2
	v_fma_f32 v3, -s6, v3, v2
	v_fma_f32 v3, -s6, v3, v2
	v_fma_f32 v3, -s6, v3, v2
	v_fma_f32 v3, -s6, v3, v2
	v_fma_f32 v3, -s6, v3, v2
	v_fma_f32 v3, -s6, v3, v2
	v_fma_f32 v3, -s6, v3, v2
	v_fma_f32 v3, -s6, v3, v2
	v_fma_f32 v3, -s6, v3, v2
	v_fma_f32 v3, -s6, v3, v2
	v_fma_f32 v3, -s6, v3, v2
	v_fma_f32 v3, -s6, v3, v2
	v_fma_f32 v3, -s6, v3, v2
	v_fma_f32 v3, -s6, v3, v2
	v_fma_f32 v3, -s6, v3, v2
	v_fma_f32 v3, -s6, v3, v2
	v_fma_f32 v3, -s6, v3, v2
	v_fma_f32 v3, -s6, v3, v2
	v_fma_f32 v3, -s6, v3, v2
	v_fma_f32 v3, -s6, v3, v2
	v_fma_f32 v3, -s6, v3, v2
	v_fma_f32 v3, -s6, v3, v2
	v_fma_f32 v3, -s6, v3, v2
	v_fma_f32 v3, -s6, v3, v2
	v_fma_f32 v3, -s6, v3, v2
	v_fma_f32 v3, -s6, v3, v2
	v_fma_f32 v3, -s6, v3, v2
	v_fma_f32 v3, -s6, v3, v2
	v_fma_f32 v3, -s6, v3, v2
	v_fma_f32 v3, -s6, v3, v2
	v_fma_f32 v3, -s6, v3, v2
	v_fma_f32 v3, -s6, v3, v2
	v_fma_f32 v3, -s6, v3, v2
	v_fma_f32 v3, -s6, v3, v2
	v_fma_f32 v3, -s6, v3, v2
	v_fma_f32 v3, -s6, v3, v2
	v_fma_f32 v3, -s6, v3, v2
	v_fma_f32 v3, -s6, v3, v2
	v_fma_f32 v3, -s6, v3, v2
	v_fma_f32 v3, -s6, v3, v2
	v_fma_f32 v3, -s6, v3, v2
	v_fma_f32 v3, -s6, v3, v2
	v_fma_f32 v3, -s6, v3, v2
	v_fma_f32 v3, -s6, v3, v2
	v_fma_f32 v3, -s6, v3, v2
	v_fma_f32 v3, -s6, v3, v2
	v_fma_f32 v3, -s6, v3, v2
	v_fma_f32 v3, -s6, v3, v2
	v_fma_f32 v3, -s6, v3, v2
	v_fma_f32 v3, -s6, v3, v2
	v_fma_f32 v3, -s6, v3, v2
	v_fma_f32 v3, -s6, v3, v2
	v_fma_f32 v3, -s6, v3, v2
	v_fma_f32 v3, -s6, v3, v2
	v_fma_f32 v3, -s6, v3, v2
	v_fma_f32 v3, -s6, v3, v2
	v_fma_f32 v3, -s6, v3, v2
	v_fma_f32 v3, -s6, v3, v2
	v_fma_f32 v3, -s6, v3, v2
	v_fma_f32 v3, -s6, v3, v2
	v_fma_f32 v3, -s6, v3, v2
	v_fma_f32 v3, -s6, v3, v2
	v_fma_f32 v3, -s6, v3, v2
	v_fma_f32 v3, -s6, v3, v2
	v_fma_f32 v3, -s6, v3, v2
	v_fma_f32 v3, -s6, v3, v2
	v_fma_f32 v3, -s6, v3, v2
	v_fma_f32 v3, -s6, v3, v2
	v_fma_f32 v3, -s6, v3, v2
	v_fma_f32 v3, -s6, v3, v2
	v_fma_f32 v3, -s6, v3, v2
	v_fma_f32 v3, -s6, v3, v2
	s_add_i32 s4, s4, -1
	s_cmp_eq_u32 s4, 0
	v_fma_f32 v3, -s6, v3, v2
	s_cbranch_scc0 .LBB8_2
.LBB8_3:
	s_waitcnt vmcnt(0)
	global_store_dword v[0:1], v3, off
	s_endpgm
	.section	.rodata,"a",@progbits
	.p2align	6, 0x0
	.amdhsa_kernel _Z5MAdd1IfEvPT_iS0_S0_
		.amdhsa_group_segment_fixed_size 0
		.amdhsa_private_segment_fixed_size 0
		.amdhsa_kernarg_size 280
		.amdhsa_user_sgpr_count 2
		.amdhsa_user_sgpr_dispatch_ptr 0
		.amdhsa_user_sgpr_queue_ptr 0
		.amdhsa_user_sgpr_kernarg_segment_ptr 1
		.amdhsa_user_sgpr_dispatch_id 0
		.amdhsa_user_sgpr_kernarg_preload_length 0
		.amdhsa_user_sgpr_kernarg_preload_offset 0
		.amdhsa_user_sgpr_private_segment_size 0
		.amdhsa_uses_dynamic_stack 0
		.amdhsa_enable_private_segment 0
		.amdhsa_system_sgpr_workgroup_id_x 1
		.amdhsa_system_sgpr_workgroup_id_y 0
		.amdhsa_system_sgpr_workgroup_id_z 0
		.amdhsa_system_sgpr_workgroup_info 0
		.amdhsa_system_vgpr_workitem_id 0
		.amdhsa_next_free_vgpr 4
		.amdhsa_next_free_sgpr 10
		.amdhsa_accum_offset 4
		.amdhsa_reserve_vcc 0
		.amdhsa_float_round_mode_32 0
		.amdhsa_float_round_mode_16_64 0
		.amdhsa_float_denorm_mode_32 3
		.amdhsa_float_denorm_mode_16_64 3
		.amdhsa_dx10_clamp 1
		.amdhsa_ieee_mode 1
		.amdhsa_fp16_overflow 0
		.amdhsa_tg_split 0
		.amdhsa_exception_fp_ieee_invalid_op 0
		.amdhsa_exception_fp_denorm_src 0
		.amdhsa_exception_fp_ieee_div_zero 0
		.amdhsa_exception_fp_ieee_overflow 0
		.amdhsa_exception_fp_ieee_underflow 0
		.amdhsa_exception_fp_ieee_inexact 0
		.amdhsa_exception_int_div_zero 0
	.end_amdhsa_kernel
	.section	.text._Z5MAdd1IfEvPT_iS0_S0_,"axG",@progbits,_Z5MAdd1IfEvPT_iS0_S0_,comdat
.Lfunc_end8:
	.size	_Z5MAdd1IfEvPT_iS0_S0_, .Lfunc_end8-_Z5MAdd1IfEvPT_iS0_S0_
                                        ; -- End function
	.set _Z5MAdd1IfEvPT_iS0_S0_.num_vgpr, 4
	.set _Z5MAdd1IfEvPT_iS0_S0_.num_agpr, 0
	.set _Z5MAdd1IfEvPT_iS0_S0_.numbered_sgpr, 10
	.set _Z5MAdd1IfEvPT_iS0_S0_.num_named_barrier, 0
	.set _Z5MAdd1IfEvPT_iS0_S0_.private_seg_size, 0
	.set _Z5MAdd1IfEvPT_iS0_S0_.uses_vcc, 0
	.set _Z5MAdd1IfEvPT_iS0_S0_.uses_flat_scratch, 0
	.set _Z5MAdd1IfEvPT_iS0_S0_.has_dyn_sized_stack, 0
	.set _Z5MAdd1IfEvPT_iS0_S0_.has_recursion, 0
	.set _Z5MAdd1IfEvPT_iS0_S0_.has_indirect_call, 0
	.section	.AMDGPU.csdata,"",@progbits
; Kernel info:
; codeLenInByte = 2028
; TotalNumSgprs: 16
; NumVgprs: 4
; NumAgprs: 0
; TotalNumVgprs: 4
; ScratchSize: 0
; MemoryBound: 0
; FloatMode: 240
; IeeeMode: 1
; LDSByteSize: 0 bytes/workgroup (compile time only)
; SGPRBlocks: 1
; VGPRBlocks: 0
; NumSGPRsForWavesPerEU: 16
; NumVGPRsForWavesPerEU: 4
; AccumOffset: 4
; Occupancy: 8
; WaveLimiterHint : 0
; COMPUTE_PGM_RSRC2:SCRATCH_EN: 0
; COMPUTE_PGM_RSRC2:USER_SGPR: 2
; COMPUTE_PGM_RSRC2:TRAP_HANDLER: 0
; COMPUTE_PGM_RSRC2:TGID_X_EN: 1
; COMPUTE_PGM_RSRC2:TGID_Y_EN: 0
; COMPUTE_PGM_RSRC2:TGID_Z_EN: 0
; COMPUTE_PGM_RSRC2:TIDIG_COMP_CNT: 0
; COMPUTE_PGM_RSRC3_GFX90A:ACCUM_OFFSET: 0
; COMPUTE_PGM_RSRC3_GFX90A:TG_SPLIT: 0
	.section	.text._Z5MAdd2IfEvPT_iS0_S0_,"axG",@progbits,_Z5MAdd2IfEvPT_iS0_S0_,comdat
	.protected	_Z5MAdd2IfEvPT_iS0_S0_  ; -- Begin function _Z5MAdd2IfEvPT_iS0_S0_
	.globl	_Z5MAdd2IfEvPT_iS0_S0_
	.p2align	8
	.type	_Z5MAdd2IfEvPT_iS0_S0_,@function
_Z5MAdd2IfEvPT_iS0_S0_:                 ; @_Z5MAdd2IfEvPT_iS0_S0_
; %bb.0:
	s_load_dword s3, s[0:1], 0x24
	s_load_dwordx2 s[8:9], s[0:1], 0x0
	s_load_dwordx4 s[4:7], s[0:1], 0x8
	s_waitcnt lgkmcnt(0)
	s_and_b32 s0, s3, 0xffff
	s_mul_i32 s2, s2, s0
	v_add_u32_e32 v0, s2, v0
	v_ashrrev_i32_e32 v1, 31, v0
	v_lshl_add_u64 v[0:1], v[0:1], 2, s[8:9]
	global_load_dword v5, v[0:1], off
	s_cmp_lt_i32 s4, 1
	s_waitcnt vmcnt(0)
	v_sub_f32_e32 v4, 0x41200000, v5
	s_cbranch_scc1 .LBB9_3
; %bb.1:
	s_mov_b32 s0, s5
	s_mov_b32 s1, s5
	;; [unrolled: 1-line block ×3, first 2 shown]
	v_mov_b64_e32 v[2:3], s[0:1]
.LBB9_2:                                ; =>This Inner Loop Header: Depth=1
	v_pk_fma_f32 v[4:5], s[6:7], v[4:5], v[2:3] neg_lo:[1,0,0] neg_hi:[1,0,0]
	s_add_i32 s4, s4, -1
	v_pk_fma_f32 v[4:5], s[6:7], v[4:5], v[2:3] neg_lo:[1,0,0] neg_hi:[1,0,0]
	s_cmp_eq_u32 s4, 0
	v_pk_fma_f32 v[4:5], s[6:7], v[4:5], v[2:3] neg_lo:[1,0,0] neg_hi:[1,0,0]
	s_nop 0
	v_pk_fma_f32 v[4:5], s[6:7], v[4:5], v[2:3] neg_lo:[1,0,0] neg_hi:[1,0,0]
	s_nop 0
	;; [unrolled: 2-line block ×117, first 2 shown]
	v_pk_fma_f32 v[4:5], s[6:7], v[4:5], v[2:3] neg_lo:[1,0,0] neg_hi:[1,0,0]
	s_cbranch_scc0 .LBB9_2
.LBB9_3:
	v_add_f32_e32 v2, v5, v4
	global_store_dword v[0:1], v2, off
	s_endpgm
	.section	.rodata,"a",@progbits
	.p2align	6, 0x0
	.amdhsa_kernel _Z5MAdd2IfEvPT_iS0_S0_
		.amdhsa_group_segment_fixed_size 0
		.amdhsa_private_segment_fixed_size 0
		.amdhsa_kernarg_size 280
		.amdhsa_user_sgpr_count 2
		.amdhsa_user_sgpr_dispatch_ptr 0
		.amdhsa_user_sgpr_queue_ptr 0
		.amdhsa_user_sgpr_kernarg_segment_ptr 1
		.amdhsa_user_sgpr_dispatch_id 0
		.amdhsa_user_sgpr_kernarg_preload_length 0
		.amdhsa_user_sgpr_kernarg_preload_offset 0
		.amdhsa_user_sgpr_private_segment_size 0
		.amdhsa_uses_dynamic_stack 0
		.amdhsa_enable_private_segment 0
		.amdhsa_system_sgpr_workgroup_id_x 1
		.amdhsa_system_sgpr_workgroup_id_y 0
		.amdhsa_system_sgpr_workgroup_id_z 0
		.amdhsa_system_sgpr_workgroup_info 0
		.amdhsa_system_vgpr_workitem_id 0
		.amdhsa_next_free_vgpr 6
		.amdhsa_next_free_sgpr 10
		.amdhsa_accum_offset 8
		.amdhsa_reserve_vcc 0
		.amdhsa_float_round_mode_32 0
		.amdhsa_float_round_mode_16_64 0
		.amdhsa_float_denorm_mode_32 3
		.amdhsa_float_denorm_mode_16_64 3
		.amdhsa_dx10_clamp 1
		.amdhsa_ieee_mode 1
		.amdhsa_fp16_overflow 0
		.amdhsa_tg_split 0
		.amdhsa_exception_fp_ieee_invalid_op 0
		.amdhsa_exception_fp_denorm_src 0
		.amdhsa_exception_fp_ieee_div_zero 0
		.amdhsa_exception_fp_ieee_overflow 0
		.amdhsa_exception_fp_ieee_underflow 0
		.amdhsa_exception_fp_ieee_inexact 0
		.amdhsa_exception_int_div_zero 0
	.end_amdhsa_kernel
	.section	.text._Z5MAdd2IfEvPT_iS0_S0_,"axG",@progbits,_Z5MAdd2IfEvPT_iS0_S0_,comdat
.Lfunc_end9:
	.size	_Z5MAdd2IfEvPT_iS0_S0_, .Lfunc_end9-_Z5MAdd2IfEvPT_iS0_S0_
                                        ; -- End function
	.set _Z5MAdd2IfEvPT_iS0_S0_.num_vgpr, 6
	.set _Z5MAdd2IfEvPT_iS0_S0_.num_agpr, 0
	.set _Z5MAdd2IfEvPT_iS0_S0_.numbered_sgpr, 10
	.set _Z5MAdd2IfEvPT_iS0_S0_.num_named_barrier, 0
	.set _Z5MAdd2IfEvPT_iS0_S0_.private_seg_size, 0
	.set _Z5MAdd2IfEvPT_iS0_S0_.uses_vcc, 0
	.set _Z5MAdd2IfEvPT_iS0_S0_.uses_flat_scratch, 0
	.set _Z5MAdd2IfEvPT_iS0_S0_.has_dyn_sized_stack, 0
	.set _Z5MAdd2IfEvPT_iS0_S0_.has_recursion, 0
	.set _Z5MAdd2IfEvPT_iS0_S0_.has_indirect_call, 0
	.section	.AMDGPU.csdata,"",@progbits
; Kernel info:
; codeLenInByte = 1556
; TotalNumSgprs: 16
; NumVgprs: 6
; NumAgprs: 0
; TotalNumVgprs: 6
; ScratchSize: 0
; MemoryBound: 0
; FloatMode: 240
; IeeeMode: 1
; LDSByteSize: 0 bytes/workgroup (compile time only)
; SGPRBlocks: 1
; VGPRBlocks: 0
; NumSGPRsForWavesPerEU: 16
; NumVGPRsForWavesPerEU: 6
; AccumOffset: 8
; Occupancy: 8
; WaveLimiterHint : 0
; COMPUTE_PGM_RSRC2:SCRATCH_EN: 0
; COMPUTE_PGM_RSRC2:USER_SGPR: 2
; COMPUTE_PGM_RSRC2:TRAP_HANDLER: 0
; COMPUTE_PGM_RSRC2:TGID_X_EN: 1
; COMPUTE_PGM_RSRC2:TGID_Y_EN: 0
; COMPUTE_PGM_RSRC2:TGID_Z_EN: 0
; COMPUTE_PGM_RSRC2:TIDIG_COMP_CNT: 0
; COMPUTE_PGM_RSRC3_GFX90A:ACCUM_OFFSET: 1
; COMPUTE_PGM_RSRC3_GFX90A:TG_SPLIT: 0
	.section	.text._Z5MAdd4IfEvPT_iS0_S0_,"axG",@progbits,_Z5MAdd4IfEvPT_iS0_S0_,comdat
	.protected	_Z5MAdd4IfEvPT_iS0_S0_  ; -- Begin function _Z5MAdd4IfEvPT_iS0_S0_
	.globl	_Z5MAdd4IfEvPT_iS0_S0_
	.p2align	8
	.type	_Z5MAdd4IfEvPT_iS0_S0_,@function
_Z5MAdd4IfEvPT_iS0_S0_:                 ; @_Z5MAdd4IfEvPT_iS0_S0_
; %bb.0:
	s_load_dword s3, s[0:1], 0x24
	s_load_dwordx2 s[8:9], s[0:1], 0x0
	s_load_dwordx4 s[4:7], s[0:1], 0x8
	s_waitcnt lgkmcnt(0)
	s_and_b32 s0, s3, 0xffff
	s_mul_i32 s2, s2, s0
	v_add_u32_e32 v0, s2, v0
	v_ashrrev_i32_e32 v1, 31, v0
	v_lshl_add_u64 v[0:1], v[0:1], 2, s[8:9]
	global_load_dword v4, v[0:1], off
	s_mov_b32 s0, 0x41200000
	s_mov_b32 s1, 0x41100000
	s_cmp_lt_i32 s4, 1
	s_waitcnt vmcnt(0)
	v_pk_add_f32 v[6:7], v[4:5], s[0:1] op_sel_hi:[0,1] neg_lo:[1,0] neg_hi:[1,0]
	v_sub_f32_e32 v5, 0x41100000, v6
	s_cbranch_scc1 .LBB10_3
; %bb.1:
	s_mov_b32 s0, s5
	s_mov_b32 s1, s5
	;; [unrolled: 1-line block ×3, first 2 shown]
	v_mov_b64_e32 v[2:3], s[0:1]
.LBB10_2:                               ; =>This Inner Loop Header: Depth=1
	v_pk_fma_f32 v[6:7], s[6:7], v[6:7], v[2:3] neg_lo:[1,0,0] neg_hi:[1,0,0]
	v_pk_fma_f32 v[4:5], s[6:7], v[4:5], v[2:3] neg_lo:[1,0,0] neg_hi:[1,0,0]
	v_pk_fma_f32 v[6:7], s[6:7], v[6:7], v[2:3] neg_lo:[1,0,0] neg_hi:[1,0,0]
	v_pk_fma_f32 v[4:5], s[6:7], v[4:5], v[2:3] neg_lo:[1,0,0] neg_hi:[1,0,0]
	v_pk_fma_f32 v[6:7], s[6:7], v[6:7], v[2:3] neg_lo:[1,0,0] neg_hi:[1,0,0]
	v_pk_fma_f32 v[4:5], s[6:7], v[4:5], v[2:3] neg_lo:[1,0,0] neg_hi:[1,0,0]
	v_pk_fma_f32 v[6:7], s[6:7], v[6:7], v[2:3] neg_lo:[1,0,0] neg_hi:[1,0,0]
	v_pk_fma_f32 v[4:5], s[6:7], v[4:5], v[2:3] neg_lo:[1,0,0] neg_hi:[1,0,0]
	v_pk_fma_f32 v[6:7], s[6:7], v[6:7], v[2:3] neg_lo:[1,0,0] neg_hi:[1,0,0]
	v_pk_fma_f32 v[4:5], s[6:7], v[4:5], v[2:3] neg_lo:[1,0,0] neg_hi:[1,0,0]
	v_pk_fma_f32 v[6:7], s[6:7], v[6:7], v[2:3] neg_lo:[1,0,0] neg_hi:[1,0,0]
	v_pk_fma_f32 v[4:5], s[6:7], v[4:5], v[2:3] neg_lo:[1,0,0] neg_hi:[1,0,0]
	v_pk_fma_f32 v[6:7], s[6:7], v[6:7], v[2:3] neg_lo:[1,0,0] neg_hi:[1,0,0]
	v_pk_fma_f32 v[4:5], s[6:7], v[4:5], v[2:3] neg_lo:[1,0,0] neg_hi:[1,0,0]
	v_pk_fma_f32 v[6:7], s[6:7], v[6:7], v[2:3] neg_lo:[1,0,0] neg_hi:[1,0,0]
	v_pk_fma_f32 v[4:5], s[6:7], v[4:5], v[2:3] neg_lo:[1,0,0] neg_hi:[1,0,0]
	v_pk_fma_f32 v[6:7], s[6:7], v[6:7], v[2:3] neg_lo:[1,0,0] neg_hi:[1,0,0]
	v_pk_fma_f32 v[4:5], s[6:7], v[4:5], v[2:3] neg_lo:[1,0,0] neg_hi:[1,0,0]
	v_pk_fma_f32 v[6:7], s[6:7], v[6:7], v[2:3] neg_lo:[1,0,0] neg_hi:[1,0,0]
	v_pk_fma_f32 v[4:5], s[6:7], v[4:5], v[2:3] neg_lo:[1,0,0] neg_hi:[1,0,0]
	v_pk_fma_f32 v[6:7], s[6:7], v[6:7], v[2:3] neg_lo:[1,0,0] neg_hi:[1,0,0]
	v_pk_fma_f32 v[4:5], s[6:7], v[4:5], v[2:3] neg_lo:[1,0,0] neg_hi:[1,0,0]
	v_pk_fma_f32 v[6:7], s[6:7], v[6:7], v[2:3] neg_lo:[1,0,0] neg_hi:[1,0,0]
	v_pk_fma_f32 v[4:5], s[6:7], v[4:5], v[2:3] neg_lo:[1,0,0] neg_hi:[1,0,0]
	v_pk_fma_f32 v[6:7], s[6:7], v[6:7], v[2:3] neg_lo:[1,0,0] neg_hi:[1,0,0]
	v_pk_fma_f32 v[4:5], s[6:7], v[4:5], v[2:3] neg_lo:[1,0,0] neg_hi:[1,0,0]
	v_pk_fma_f32 v[6:7], s[6:7], v[6:7], v[2:3] neg_lo:[1,0,0] neg_hi:[1,0,0]
	v_pk_fma_f32 v[4:5], s[6:7], v[4:5], v[2:3] neg_lo:[1,0,0] neg_hi:[1,0,0]
	v_pk_fma_f32 v[6:7], s[6:7], v[6:7], v[2:3] neg_lo:[1,0,0] neg_hi:[1,0,0]
	v_pk_fma_f32 v[4:5], s[6:7], v[4:5], v[2:3] neg_lo:[1,0,0] neg_hi:[1,0,0]
	v_pk_fma_f32 v[6:7], s[6:7], v[6:7], v[2:3] neg_lo:[1,0,0] neg_hi:[1,0,0]
	v_pk_fma_f32 v[4:5], s[6:7], v[4:5], v[2:3] neg_lo:[1,0,0] neg_hi:[1,0,0]
	v_pk_fma_f32 v[6:7], s[6:7], v[6:7], v[2:3] neg_lo:[1,0,0] neg_hi:[1,0,0]
	v_pk_fma_f32 v[4:5], s[6:7], v[4:5], v[2:3] neg_lo:[1,0,0] neg_hi:[1,0,0]
	v_pk_fma_f32 v[6:7], s[6:7], v[6:7], v[2:3] neg_lo:[1,0,0] neg_hi:[1,0,0]
	v_pk_fma_f32 v[4:5], s[6:7], v[4:5], v[2:3] neg_lo:[1,0,0] neg_hi:[1,0,0]
	v_pk_fma_f32 v[6:7], s[6:7], v[6:7], v[2:3] neg_lo:[1,0,0] neg_hi:[1,0,0]
	v_pk_fma_f32 v[4:5], s[6:7], v[4:5], v[2:3] neg_lo:[1,0,0] neg_hi:[1,0,0]
	v_pk_fma_f32 v[6:7], s[6:7], v[6:7], v[2:3] neg_lo:[1,0,0] neg_hi:[1,0,0]
	v_pk_fma_f32 v[4:5], s[6:7], v[4:5], v[2:3] neg_lo:[1,0,0] neg_hi:[1,0,0]
	v_pk_fma_f32 v[6:7], s[6:7], v[6:7], v[2:3] neg_lo:[1,0,0] neg_hi:[1,0,0]
	v_pk_fma_f32 v[4:5], s[6:7], v[4:5], v[2:3] neg_lo:[1,0,0] neg_hi:[1,0,0]
	v_pk_fma_f32 v[6:7], s[6:7], v[6:7], v[2:3] neg_lo:[1,0,0] neg_hi:[1,0,0]
	v_pk_fma_f32 v[4:5], s[6:7], v[4:5], v[2:3] neg_lo:[1,0,0] neg_hi:[1,0,0]
	v_pk_fma_f32 v[6:7], s[6:7], v[6:7], v[2:3] neg_lo:[1,0,0] neg_hi:[1,0,0]
	v_pk_fma_f32 v[4:5], s[6:7], v[4:5], v[2:3] neg_lo:[1,0,0] neg_hi:[1,0,0]
	v_pk_fma_f32 v[6:7], s[6:7], v[6:7], v[2:3] neg_lo:[1,0,0] neg_hi:[1,0,0]
	v_pk_fma_f32 v[4:5], s[6:7], v[4:5], v[2:3] neg_lo:[1,0,0] neg_hi:[1,0,0]
	v_pk_fma_f32 v[6:7], s[6:7], v[6:7], v[2:3] neg_lo:[1,0,0] neg_hi:[1,0,0]
	v_pk_fma_f32 v[4:5], s[6:7], v[4:5], v[2:3] neg_lo:[1,0,0] neg_hi:[1,0,0]
	v_pk_fma_f32 v[6:7], s[6:7], v[6:7], v[2:3] neg_lo:[1,0,0] neg_hi:[1,0,0]
	v_pk_fma_f32 v[4:5], s[6:7], v[4:5], v[2:3] neg_lo:[1,0,0] neg_hi:[1,0,0]
	v_pk_fma_f32 v[6:7], s[6:7], v[6:7], v[2:3] neg_lo:[1,0,0] neg_hi:[1,0,0]
	v_pk_fma_f32 v[4:5], s[6:7], v[4:5], v[2:3] neg_lo:[1,0,0] neg_hi:[1,0,0]
	v_pk_fma_f32 v[6:7], s[6:7], v[6:7], v[2:3] neg_lo:[1,0,0] neg_hi:[1,0,0]
	v_pk_fma_f32 v[4:5], s[6:7], v[4:5], v[2:3] neg_lo:[1,0,0] neg_hi:[1,0,0]
	v_pk_fma_f32 v[6:7], s[6:7], v[6:7], v[2:3] neg_lo:[1,0,0] neg_hi:[1,0,0]
	v_pk_fma_f32 v[4:5], s[6:7], v[4:5], v[2:3] neg_lo:[1,0,0] neg_hi:[1,0,0]
	v_pk_fma_f32 v[6:7], s[6:7], v[6:7], v[2:3] neg_lo:[1,0,0] neg_hi:[1,0,0]
	v_pk_fma_f32 v[4:5], s[6:7], v[4:5], v[2:3] neg_lo:[1,0,0] neg_hi:[1,0,0]
	v_pk_fma_f32 v[6:7], s[6:7], v[6:7], v[2:3] neg_lo:[1,0,0] neg_hi:[1,0,0]
	v_pk_fma_f32 v[4:5], s[6:7], v[4:5], v[2:3] neg_lo:[1,0,0] neg_hi:[1,0,0]
	v_pk_fma_f32 v[6:7], s[6:7], v[6:7], v[2:3] neg_lo:[1,0,0] neg_hi:[1,0,0]
	v_pk_fma_f32 v[4:5], s[6:7], v[4:5], v[2:3] neg_lo:[1,0,0] neg_hi:[1,0,0]
	v_pk_fma_f32 v[6:7], s[6:7], v[6:7], v[2:3] neg_lo:[1,0,0] neg_hi:[1,0,0]
	v_pk_fma_f32 v[4:5], s[6:7], v[4:5], v[2:3] neg_lo:[1,0,0] neg_hi:[1,0,0]
	v_pk_fma_f32 v[6:7], s[6:7], v[6:7], v[2:3] neg_lo:[1,0,0] neg_hi:[1,0,0]
	v_pk_fma_f32 v[4:5], s[6:7], v[4:5], v[2:3] neg_lo:[1,0,0] neg_hi:[1,0,0]
	v_pk_fma_f32 v[6:7], s[6:7], v[6:7], v[2:3] neg_lo:[1,0,0] neg_hi:[1,0,0]
	v_pk_fma_f32 v[4:5], s[6:7], v[4:5], v[2:3] neg_lo:[1,0,0] neg_hi:[1,0,0]
	v_pk_fma_f32 v[6:7], s[6:7], v[6:7], v[2:3] neg_lo:[1,0,0] neg_hi:[1,0,0]
	v_pk_fma_f32 v[4:5], s[6:7], v[4:5], v[2:3] neg_lo:[1,0,0] neg_hi:[1,0,0]
	v_pk_fma_f32 v[6:7], s[6:7], v[6:7], v[2:3] neg_lo:[1,0,0] neg_hi:[1,0,0]
	v_pk_fma_f32 v[4:5], s[6:7], v[4:5], v[2:3] neg_lo:[1,0,0] neg_hi:[1,0,0]
	v_pk_fma_f32 v[6:7], s[6:7], v[6:7], v[2:3] neg_lo:[1,0,0] neg_hi:[1,0,0]
	v_pk_fma_f32 v[4:5], s[6:7], v[4:5], v[2:3] neg_lo:[1,0,0] neg_hi:[1,0,0]
	v_pk_fma_f32 v[6:7], s[6:7], v[6:7], v[2:3] neg_lo:[1,0,0] neg_hi:[1,0,0]
	v_pk_fma_f32 v[4:5], s[6:7], v[4:5], v[2:3] neg_lo:[1,0,0] neg_hi:[1,0,0]
	v_pk_fma_f32 v[6:7], s[6:7], v[6:7], v[2:3] neg_lo:[1,0,0] neg_hi:[1,0,0]
	v_pk_fma_f32 v[4:5], s[6:7], v[4:5], v[2:3] neg_lo:[1,0,0] neg_hi:[1,0,0]
	v_pk_fma_f32 v[6:7], s[6:7], v[6:7], v[2:3] neg_lo:[1,0,0] neg_hi:[1,0,0]
	v_pk_fma_f32 v[4:5], s[6:7], v[4:5], v[2:3] neg_lo:[1,0,0] neg_hi:[1,0,0]
	v_pk_fma_f32 v[6:7], s[6:7], v[6:7], v[2:3] neg_lo:[1,0,0] neg_hi:[1,0,0]
	v_pk_fma_f32 v[4:5], s[6:7], v[4:5], v[2:3] neg_lo:[1,0,0] neg_hi:[1,0,0]
	v_pk_fma_f32 v[6:7], s[6:7], v[6:7], v[2:3] neg_lo:[1,0,0] neg_hi:[1,0,0]
	v_pk_fma_f32 v[4:5], s[6:7], v[4:5], v[2:3] neg_lo:[1,0,0] neg_hi:[1,0,0]
	v_pk_fma_f32 v[6:7], s[6:7], v[6:7], v[2:3] neg_lo:[1,0,0] neg_hi:[1,0,0]
	v_pk_fma_f32 v[4:5], s[6:7], v[4:5], v[2:3] neg_lo:[1,0,0] neg_hi:[1,0,0]
	v_pk_fma_f32 v[6:7], s[6:7], v[6:7], v[2:3] neg_lo:[1,0,0] neg_hi:[1,0,0]
	v_pk_fma_f32 v[4:5], s[6:7], v[4:5], v[2:3] neg_lo:[1,0,0] neg_hi:[1,0,0]
	v_pk_fma_f32 v[6:7], s[6:7], v[6:7], v[2:3] neg_lo:[1,0,0] neg_hi:[1,0,0]
	v_pk_fma_f32 v[4:5], s[6:7], v[4:5], v[2:3] neg_lo:[1,0,0] neg_hi:[1,0,0]
	v_pk_fma_f32 v[6:7], s[6:7], v[6:7], v[2:3] neg_lo:[1,0,0] neg_hi:[1,0,0]
	v_pk_fma_f32 v[4:5], s[6:7], v[4:5], v[2:3] neg_lo:[1,0,0] neg_hi:[1,0,0]
	v_pk_fma_f32 v[6:7], s[6:7], v[6:7], v[2:3] neg_lo:[1,0,0] neg_hi:[1,0,0]
	v_pk_fma_f32 v[4:5], s[6:7], v[4:5], v[2:3] neg_lo:[1,0,0] neg_hi:[1,0,0]
	v_pk_fma_f32 v[6:7], s[6:7], v[6:7], v[2:3] neg_lo:[1,0,0] neg_hi:[1,0,0]
	v_pk_fma_f32 v[4:5], s[6:7], v[4:5], v[2:3] neg_lo:[1,0,0] neg_hi:[1,0,0]
	v_pk_fma_f32 v[6:7], s[6:7], v[6:7], v[2:3] neg_lo:[1,0,0] neg_hi:[1,0,0]
	v_pk_fma_f32 v[4:5], s[6:7], v[4:5], v[2:3] neg_lo:[1,0,0] neg_hi:[1,0,0]
	v_pk_fma_f32 v[6:7], s[6:7], v[6:7], v[2:3] neg_lo:[1,0,0] neg_hi:[1,0,0]
	v_pk_fma_f32 v[4:5], s[6:7], v[4:5], v[2:3] neg_lo:[1,0,0] neg_hi:[1,0,0]
	v_pk_fma_f32 v[6:7], s[6:7], v[6:7], v[2:3] neg_lo:[1,0,0] neg_hi:[1,0,0]
	v_pk_fma_f32 v[4:5], s[6:7], v[4:5], v[2:3] neg_lo:[1,0,0] neg_hi:[1,0,0]
	v_pk_fma_f32 v[6:7], s[6:7], v[6:7], v[2:3] neg_lo:[1,0,0] neg_hi:[1,0,0]
	v_pk_fma_f32 v[4:5], s[6:7], v[4:5], v[2:3] neg_lo:[1,0,0] neg_hi:[1,0,0]
	v_pk_fma_f32 v[6:7], s[6:7], v[6:7], v[2:3] neg_lo:[1,0,0] neg_hi:[1,0,0]
	v_pk_fma_f32 v[4:5], s[6:7], v[4:5], v[2:3] neg_lo:[1,0,0] neg_hi:[1,0,0]
	v_pk_fma_f32 v[6:7], s[6:7], v[6:7], v[2:3] neg_lo:[1,0,0] neg_hi:[1,0,0]
	v_pk_fma_f32 v[4:5], s[6:7], v[4:5], v[2:3] neg_lo:[1,0,0] neg_hi:[1,0,0]
	v_pk_fma_f32 v[6:7], s[6:7], v[6:7], v[2:3] neg_lo:[1,0,0] neg_hi:[1,0,0]
	v_pk_fma_f32 v[4:5], s[6:7], v[4:5], v[2:3] neg_lo:[1,0,0] neg_hi:[1,0,0]
	v_pk_fma_f32 v[6:7], s[6:7], v[6:7], v[2:3] neg_lo:[1,0,0] neg_hi:[1,0,0]
	v_pk_fma_f32 v[4:5], s[6:7], v[4:5], v[2:3] neg_lo:[1,0,0] neg_hi:[1,0,0]
	v_pk_fma_f32 v[6:7], s[6:7], v[6:7], v[2:3] neg_lo:[1,0,0] neg_hi:[1,0,0]
	v_pk_fma_f32 v[4:5], s[6:7], v[4:5], v[2:3] neg_lo:[1,0,0] neg_hi:[1,0,0]
	v_pk_fma_f32 v[6:7], s[6:7], v[6:7], v[2:3] neg_lo:[1,0,0] neg_hi:[1,0,0]
	v_pk_fma_f32 v[4:5], s[6:7], v[4:5], v[2:3] neg_lo:[1,0,0] neg_hi:[1,0,0]
	s_add_i32 s4, s4, -1
	v_pk_fma_f32 v[6:7], s[6:7], v[6:7], v[2:3] neg_lo:[1,0,0] neg_hi:[1,0,0]
	s_cmp_eq_u32 s4, 0
	v_pk_fma_f32 v[4:5], s[6:7], v[4:5], v[2:3] neg_lo:[1,0,0] neg_hi:[1,0,0]
	s_cbranch_scc0 .LBB10_2
.LBB10_3:
	v_pk_add_f32 v[2:3], v[4:5], v[6:7]
	s_nop 0
	v_add_f32_e32 v2, v2, v3
	global_store_dword v[0:1], v2, off
	s_endpgm
	.section	.rodata,"a",@progbits
	.p2align	6, 0x0
	.amdhsa_kernel _Z5MAdd4IfEvPT_iS0_S0_
		.amdhsa_group_segment_fixed_size 0
		.amdhsa_private_segment_fixed_size 0
		.amdhsa_kernarg_size 280
		.amdhsa_user_sgpr_count 2
		.amdhsa_user_sgpr_dispatch_ptr 0
		.amdhsa_user_sgpr_queue_ptr 0
		.amdhsa_user_sgpr_kernarg_segment_ptr 1
		.amdhsa_user_sgpr_dispatch_id 0
		.amdhsa_user_sgpr_kernarg_preload_length 0
		.amdhsa_user_sgpr_kernarg_preload_offset 0
		.amdhsa_user_sgpr_private_segment_size 0
		.amdhsa_uses_dynamic_stack 0
		.amdhsa_enable_private_segment 0
		.amdhsa_system_sgpr_workgroup_id_x 1
		.amdhsa_system_sgpr_workgroup_id_y 0
		.amdhsa_system_sgpr_workgroup_id_z 0
		.amdhsa_system_sgpr_workgroup_info 0
		.amdhsa_system_vgpr_workitem_id 0
		.amdhsa_next_free_vgpr 8
		.amdhsa_next_free_sgpr 10
		.amdhsa_accum_offset 8
		.amdhsa_reserve_vcc 0
		.amdhsa_float_round_mode_32 0
		.amdhsa_float_round_mode_16_64 0
		.amdhsa_float_denorm_mode_32 3
		.amdhsa_float_denorm_mode_16_64 3
		.amdhsa_dx10_clamp 1
		.amdhsa_ieee_mode 1
		.amdhsa_fp16_overflow 0
		.amdhsa_tg_split 0
		.amdhsa_exception_fp_ieee_invalid_op 0
		.amdhsa_exception_fp_denorm_src 0
		.amdhsa_exception_fp_ieee_div_zero 0
		.amdhsa_exception_fp_ieee_overflow 0
		.amdhsa_exception_fp_ieee_underflow 0
		.amdhsa_exception_fp_ieee_inexact 0
		.amdhsa_exception_int_div_zero 0
	.end_amdhsa_kernel
	.section	.text._Z5MAdd4IfEvPT_iS0_S0_,"axG",@progbits,_Z5MAdd4IfEvPT_iS0_S0_,comdat
.Lfunc_end10:
	.size	_Z5MAdd4IfEvPT_iS0_S0_, .Lfunc_end10-_Z5MAdd4IfEvPT_iS0_S0_
                                        ; -- End function
	.set _Z5MAdd4IfEvPT_iS0_S0_.num_vgpr, 8
	.set _Z5MAdd4IfEvPT_iS0_S0_.num_agpr, 0
	.set _Z5MAdd4IfEvPT_iS0_S0_.numbered_sgpr, 10
	.set _Z5MAdd4IfEvPT_iS0_S0_.num_named_barrier, 0
	.set _Z5MAdd4IfEvPT_iS0_S0_.private_seg_size, 0
	.set _Z5MAdd4IfEvPT_iS0_S0_.uses_vcc, 0
	.set _Z5MAdd4IfEvPT_iS0_S0_.uses_flat_scratch, 0
	.set _Z5MAdd4IfEvPT_iS0_S0_.has_dyn_sized_stack, 0
	.set _Z5MAdd4IfEvPT_iS0_S0_.has_recursion, 0
	.set _Z5MAdd4IfEvPT_iS0_S0_.has_indirect_call, 0
	.section	.AMDGPU.csdata,"",@progbits
; Kernel info:
; codeLenInByte = 1124
; TotalNumSgprs: 16
; NumVgprs: 8
; NumAgprs: 0
; TotalNumVgprs: 8
; ScratchSize: 0
; MemoryBound: 0
; FloatMode: 240
; IeeeMode: 1
; LDSByteSize: 0 bytes/workgroup (compile time only)
; SGPRBlocks: 1
; VGPRBlocks: 0
; NumSGPRsForWavesPerEU: 16
; NumVGPRsForWavesPerEU: 8
; AccumOffset: 8
; Occupancy: 8
; WaveLimiterHint : 0
; COMPUTE_PGM_RSRC2:SCRATCH_EN: 0
; COMPUTE_PGM_RSRC2:USER_SGPR: 2
; COMPUTE_PGM_RSRC2:TRAP_HANDLER: 0
; COMPUTE_PGM_RSRC2:TGID_X_EN: 1
; COMPUTE_PGM_RSRC2:TGID_Y_EN: 0
; COMPUTE_PGM_RSRC2:TGID_Z_EN: 0
; COMPUTE_PGM_RSRC2:TIDIG_COMP_CNT: 0
; COMPUTE_PGM_RSRC3_GFX90A:ACCUM_OFFSET: 1
; COMPUTE_PGM_RSRC3_GFX90A:TG_SPLIT: 0
	.section	.text._Z5MAdd8IfEvPT_iS0_S0_,"axG",@progbits,_Z5MAdd8IfEvPT_iS0_S0_,comdat
	.protected	_Z5MAdd8IfEvPT_iS0_S0_  ; -- Begin function _Z5MAdd8IfEvPT_iS0_S0_
	.globl	_Z5MAdd8IfEvPT_iS0_S0_
	.p2align	8
	.type	_Z5MAdd8IfEvPT_iS0_S0_,@function
_Z5MAdd8IfEvPT_iS0_S0_:                 ; @_Z5MAdd8IfEvPT_iS0_S0_
; %bb.0:
	s_load_dword s3, s[0:1], 0x24
	s_load_dwordx2 s[8:9], s[0:1], 0x0
	s_load_dwordx4 s[4:7], s[0:1], 0x8
	s_waitcnt lgkmcnt(0)
	s_and_b32 s0, s3, 0xffff
	s_mul_i32 s2, s2, s0
	v_add_u32_e32 v0, s2, v0
	v_ashrrev_i32_e32 v1, 31, v0
	v_lshl_add_u64 v[0:1], v[0:1], 2, s[8:9]
	global_load_dword v4, v[0:1], off
	s_mov_b32 s0, 0x41200000
	s_mov_b32 s1, 0x41100000
	;; [unrolled: 1-line block ×6, first 2 shown]
	s_cmp_lt_i32 s4, 1
	s_waitcnt vmcnt(0)
	v_pk_add_f32 v[6:7], v[4:5], s[0:1] op_sel_hi:[0,1] neg_lo:[1,0] neg_hi:[1,0]
	v_mov_b32_e32 v3, v4
	v_mov_b32_e32 v2, v6
	v_pk_add_f32 v[8:9], v[2:3], s[2:3] neg_lo:[1,0] neg_hi:[1,0]
	v_pk_add_f32 v[10:11], v[2:3], s[8:9] neg_lo:[1,0] neg_hi:[1,0]
	v_sub_f32_e32 v5, 0x40e00000, v6
	s_cbranch_scc1 .LBB11_3
; %bb.1:
	s_mov_b32 s0, s5
	s_mov_b32 s1, s5
	;; [unrolled: 1-line block ×3, first 2 shown]
	v_mov_b64_e32 v[2:3], s[0:1]
.LBB11_2:                               ; =>This Inner Loop Header: Depth=1
	v_pk_fma_f32 v[6:7], s[6:7], v[6:7], v[2:3] neg_lo:[1,0,0] neg_hi:[1,0,0]
	v_pk_fma_f32 v[8:9], s[6:7], v[8:9], v[2:3] neg_lo:[1,0,0] neg_hi:[1,0,0]
	;; [unrolled: 1-line block ×116, first 2 shown]
	s_add_i32 s4, s4, -1
	v_pk_fma_f32 v[6:7], s[6:7], v[6:7], v[2:3] neg_lo:[1,0,0] neg_hi:[1,0,0]
	v_pk_fma_f32 v[8:9], s[6:7], v[8:9], v[2:3] neg_lo:[1,0,0] neg_hi:[1,0,0]
	;; [unrolled: 1-line block ×3, first 2 shown]
	s_cmp_eq_u32 s4, 0
	v_pk_fma_f32 v[4:5], s[6:7], v[4:5], v[2:3] neg_lo:[1,0,0] neg_hi:[1,0,0]
	s_cbranch_scc0 .LBB11_2
.LBB11_3:
	v_pk_mov_b32 v[2:3], v[6:7], v[10:11] op_sel:[1,0]
	v_mov_b32_e32 v7, v11
	v_pk_add_f32 v[2:3], v[8:9], v[2:3]
	v_pk_add_f32 v[4:5], v[4:5], v[6:7]
	s_nop 0
	v_pk_add_f32 v[2:3], v[2:3], v[4:5]
	s_nop 0
	v_add_f32_e32 v2, v2, v3
	global_store_dword v[0:1], v2, off
	s_endpgm
	.section	.rodata,"a",@progbits
	.p2align	6, 0x0
	.amdhsa_kernel _Z5MAdd8IfEvPT_iS0_S0_
		.amdhsa_group_segment_fixed_size 0
		.amdhsa_private_segment_fixed_size 0
		.amdhsa_kernarg_size 280
		.amdhsa_user_sgpr_count 2
		.amdhsa_user_sgpr_dispatch_ptr 0
		.amdhsa_user_sgpr_queue_ptr 0
		.amdhsa_user_sgpr_kernarg_segment_ptr 1
		.amdhsa_user_sgpr_dispatch_id 0
		.amdhsa_user_sgpr_kernarg_preload_length 0
		.amdhsa_user_sgpr_kernarg_preload_offset 0
		.amdhsa_user_sgpr_private_segment_size 0
		.amdhsa_uses_dynamic_stack 0
		.amdhsa_enable_private_segment 0
		.amdhsa_system_sgpr_workgroup_id_x 1
		.amdhsa_system_sgpr_workgroup_id_y 0
		.amdhsa_system_sgpr_workgroup_id_z 0
		.amdhsa_system_sgpr_workgroup_info 0
		.amdhsa_system_vgpr_workitem_id 0
		.amdhsa_next_free_vgpr 12
		.amdhsa_next_free_sgpr 10
		.amdhsa_accum_offset 12
		.amdhsa_reserve_vcc 0
		.amdhsa_float_round_mode_32 0
		.amdhsa_float_round_mode_16_64 0
		.amdhsa_float_denorm_mode_32 3
		.amdhsa_float_denorm_mode_16_64 3
		.amdhsa_dx10_clamp 1
		.amdhsa_ieee_mode 1
		.amdhsa_fp16_overflow 0
		.amdhsa_tg_split 0
		.amdhsa_exception_fp_ieee_invalid_op 0
		.amdhsa_exception_fp_denorm_src 0
		.amdhsa_exception_fp_ieee_div_zero 0
		.amdhsa_exception_fp_ieee_overflow 0
		.amdhsa_exception_fp_ieee_underflow 0
		.amdhsa_exception_fp_ieee_inexact 0
		.amdhsa_exception_int_div_zero 0
	.end_amdhsa_kernel
	.section	.text._Z5MAdd8IfEvPT_iS0_S0_,"axG",@progbits,_Z5MAdd8IfEvPT_iS0_S0_,comdat
.Lfunc_end11:
	.size	_Z5MAdd8IfEvPT_iS0_S0_, .Lfunc_end11-_Z5MAdd8IfEvPT_iS0_S0_
                                        ; -- End function
	.set _Z5MAdd8IfEvPT_iS0_S0_.num_vgpr, 12
	.set _Z5MAdd8IfEvPT_iS0_S0_.num_agpr, 0
	.set _Z5MAdd8IfEvPT_iS0_S0_.numbered_sgpr, 10
	.set _Z5MAdd8IfEvPT_iS0_S0_.num_named_barrier, 0
	.set _Z5MAdd8IfEvPT_iS0_S0_.private_seg_size, 0
	.set _Z5MAdd8IfEvPT_iS0_S0_.uses_vcc, 0
	.set _Z5MAdd8IfEvPT_iS0_S0_.uses_flat_scratch, 0
	.set _Z5MAdd8IfEvPT_iS0_S0_.has_dyn_sized_stack, 0
	.set _Z5MAdd8IfEvPT_iS0_S0_.has_recursion, 0
	.set _Z5MAdd8IfEvPT_iS0_S0_.has_indirect_call, 0
	.section	.AMDGPU.csdata,"",@progbits
; Kernel info:
; codeLenInByte = 1204
; TotalNumSgprs: 16
; NumVgprs: 12
; NumAgprs: 0
; TotalNumVgprs: 12
; ScratchSize: 0
; MemoryBound: 0
; FloatMode: 240
; IeeeMode: 1
; LDSByteSize: 0 bytes/workgroup (compile time only)
; SGPRBlocks: 1
; VGPRBlocks: 1
; NumSGPRsForWavesPerEU: 16
; NumVGPRsForWavesPerEU: 12
; AccumOffset: 12
; Occupancy: 8
; WaveLimiterHint : 0
; COMPUTE_PGM_RSRC2:SCRATCH_EN: 0
; COMPUTE_PGM_RSRC2:USER_SGPR: 2
; COMPUTE_PGM_RSRC2:TRAP_HANDLER: 0
; COMPUTE_PGM_RSRC2:TGID_X_EN: 1
; COMPUTE_PGM_RSRC2:TGID_Y_EN: 0
; COMPUTE_PGM_RSRC2:TGID_Z_EN: 0
; COMPUTE_PGM_RSRC2:TIDIG_COMP_CNT: 0
; COMPUTE_PGM_RSRC3_GFX90A:ACCUM_OFFSET: 2
; COMPUTE_PGM_RSRC3_GFX90A:TG_SPLIT: 0
	.section	.text._Z8MulMAdd1IfEvPT_iS0_S0_,"axG",@progbits,_Z8MulMAdd1IfEvPT_iS0_S0_,comdat
	.protected	_Z8MulMAdd1IfEvPT_iS0_S0_ ; -- Begin function _Z8MulMAdd1IfEvPT_iS0_S0_
	.globl	_Z8MulMAdd1IfEvPT_iS0_S0_
	.p2align	8
	.type	_Z8MulMAdd1IfEvPT_iS0_S0_,@function
_Z8MulMAdd1IfEvPT_iS0_S0_:              ; @_Z8MulMAdd1IfEvPT_iS0_S0_
; %bb.0:
	s_load_dword s3, s[0:1], 0x24
	s_load_dwordx2 s[8:9], s[0:1], 0x0
	s_load_dwordx4 s[4:7], s[0:1], 0x8
	s_waitcnt lgkmcnt(0)
	s_and_b32 s0, s3, 0xffff
	s_mul_i32 s2, s2, s0
	v_add_u32_e32 v0, s2, v0
	v_ashrrev_i32_e32 v1, 31, v0
	v_lshl_add_u64 v[0:1], v[0:1], 2, s[8:9]
	global_load_dword v3, v[0:1], off
	s_cmp_lt_i32 s4, 1
	s_cbranch_scc1 .LBB12_3
; %bb.1:
	v_mov_b32_e32 v2, s5
.LBB12_2:                               ; =>This Inner Loop Header: Depth=1
	s_waitcnt vmcnt(0)
	v_fma_f32 v4, -s6, v3, v2
	v_mul_f32_e32 v3, v3, v4
	v_fma_f32 v4, -s6, v3, v2
	v_mul_f32_e32 v3, v3, v4
	;; [unrolled: 2-line block ×159, first 2 shown]
	v_fma_f32 v4, -s6, v3, v2
	s_add_i32 s4, s4, -1
	s_cmp_eq_u32 s4, 0
	v_mul_f32_e32 v3, v3, v4
	s_cbranch_scc0 .LBB12_2
.LBB12_3:
	s_waitcnt vmcnt(0)
	global_store_dword v[0:1], v3, off
	s_endpgm
	.section	.rodata,"a",@progbits
	.p2align	6, 0x0
	.amdhsa_kernel _Z8MulMAdd1IfEvPT_iS0_S0_
		.amdhsa_group_segment_fixed_size 0
		.amdhsa_private_segment_fixed_size 0
		.amdhsa_kernarg_size 280
		.amdhsa_user_sgpr_count 2
		.amdhsa_user_sgpr_dispatch_ptr 0
		.amdhsa_user_sgpr_queue_ptr 0
		.amdhsa_user_sgpr_kernarg_segment_ptr 1
		.amdhsa_user_sgpr_dispatch_id 0
		.amdhsa_user_sgpr_kernarg_preload_length 0
		.amdhsa_user_sgpr_kernarg_preload_offset 0
		.amdhsa_user_sgpr_private_segment_size 0
		.amdhsa_uses_dynamic_stack 0
		.amdhsa_enable_private_segment 0
		.amdhsa_system_sgpr_workgroup_id_x 1
		.amdhsa_system_sgpr_workgroup_id_y 0
		.amdhsa_system_sgpr_workgroup_id_z 0
		.amdhsa_system_sgpr_workgroup_info 0
		.amdhsa_system_vgpr_workitem_id 0
		.amdhsa_next_free_vgpr 5
		.amdhsa_next_free_sgpr 10
		.amdhsa_accum_offset 8
		.amdhsa_reserve_vcc 0
		.amdhsa_float_round_mode_32 0
		.amdhsa_float_round_mode_16_64 0
		.amdhsa_float_denorm_mode_32 3
		.amdhsa_float_denorm_mode_16_64 3
		.amdhsa_dx10_clamp 1
		.amdhsa_ieee_mode 1
		.amdhsa_fp16_overflow 0
		.amdhsa_tg_split 0
		.amdhsa_exception_fp_ieee_invalid_op 0
		.amdhsa_exception_fp_denorm_src 0
		.amdhsa_exception_fp_ieee_div_zero 0
		.amdhsa_exception_fp_ieee_overflow 0
		.amdhsa_exception_fp_ieee_underflow 0
		.amdhsa_exception_fp_ieee_inexact 0
		.amdhsa_exception_int_div_zero 0
	.end_amdhsa_kernel
	.section	.text._Z8MulMAdd1IfEvPT_iS0_S0_,"axG",@progbits,_Z8MulMAdd1IfEvPT_iS0_S0_,comdat
.Lfunc_end12:
	.size	_Z8MulMAdd1IfEvPT_iS0_S0_, .Lfunc_end12-_Z8MulMAdd1IfEvPT_iS0_S0_
                                        ; -- End function
	.set _Z8MulMAdd1IfEvPT_iS0_S0_.num_vgpr, 5
	.set _Z8MulMAdd1IfEvPT_iS0_S0_.num_agpr, 0
	.set _Z8MulMAdd1IfEvPT_iS0_S0_.numbered_sgpr, 10
	.set _Z8MulMAdd1IfEvPT_iS0_S0_.num_named_barrier, 0
	.set _Z8MulMAdd1IfEvPT_iS0_S0_.private_seg_size, 0
	.set _Z8MulMAdd1IfEvPT_iS0_S0_.uses_vcc, 0
	.set _Z8MulMAdd1IfEvPT_iS0_S0_.uses_flat_scratch, 0
	.set _Z8MulMAdd1IfEvPT_iS0_S0_.has_dyn_sized_stack, 0
	.set _Z8MulMAdd1IfEvPT_iS0_S0_.has_recursion, 0
	.set _Z8MulMAdd1IfEvPT_iS0_S0_.has_indirect_call, 0
	.section	.AMDGPU.csdata,"",@progbits
; Kernel info:
; codeLenInByte = 2028
; TotalNumSgprs: 16
; NumVgprs: 5
; NumAgprs: 0
; TotalNumVgprs: 5
; ScratchSize: 0
; MemoryBound: 0
; FloatMode: 240
; IeeeMode: 1
; LDSByteSize: 0 bytes/workgroup (compile time only)
; SGPRBlocks: 1
; VGPRBlocks: 0
; NumSGPRsForWavesPerEU: 16
; NumVGPRsForWavesPerEU: 5
; AccumOffset: 8
; Occupancy: 8
; WaveLimiterHint : 0
; COMPUTE_PGM_RSRC2:SCRATCH_EN: 0
; COMPUTE_PGM_RSRC2:USER_SGPR: 2
; COMPUTE_PGM_RSRC2:TRAP_HANDLER: 0
; COMPUTE_PGM_RSRC2:TGID_X_EN: 1
; COMPUTE_PGM_RSRC2:TGID_Y_EN: 0
; COMPUTE_PGM_RSRC2:TGID_Z_EN: 0
; COMPUTE_PGM_RSRC2:TIDIG_COMP_CNT: 0
; COMPUTE_PGM_RSRC3_GFX90A:ACCUM_OFFSET: 1
; COMPUTE_PGM_RSRC3_GFX90A:TG_SPLIT: 0
	.section	.text._Z8MulMAdd2IfEvPT_iS0_S0_,"axG",@progbits,_Z8MulMAdd2IfEvPT_iS0_S0_,comdat
	.protected	_Z8MulMAdd2IfEvPT_iS0_S0_ ; -- Begin function _Z8MulMAdd2IfEvPT_iS0_S0_
	.globl	_Z8MulMAdd2IfEvPT_iS0_S0_
	.p2align	8
	.type	_Z8MulMAdd2IfEvPT_iS0_S0_,@function
_Z8MulMAdd2IfEvPT_iS0_S0_:              ; @_Z8MulMAdd2IfEvPT_iS0_S0_
; %bb.0:
	s_load_dword s3, s[0:1], 0x24
	s_load_dwordx2 s[8:9], s[0:1], 0x0
	s_load_dwordx4 s[4:7], s[0:1], 0x8
	s_waitcnt lgkmcnt(0)
	s_and_b32 s0, s3, 0xffff
	s_mul_i32 s2, s2, s0
	v_add_u32_e32 v0, s2, v0
	v_ashrrev_i32_e32 v1, 31, v0
	v_lshl_add_u64 v[0:1], v[0:1], 2, s[8:9]
	global_load_dword v5, v[0:1], off
	s_cmp_lt_i32 s4, 1
	s_waitcnt vmcnt(0)
	v_sub_f32_e32 v4, 0x41200000, v5
	s_cbranch_scc1 .LBB13_3
; %bb.1:
	s_mov_b32 s0, s5
	s_mov_b32 s1, s5
	;; [unrolled: 1-line block ×3, first 2 shown]
	v_mov_b64_e32 v[2:3], s[0:1]
.LBB13_2:                               ; =>This Inner Loop Header: Depth=1
	v_pk_fma_f32 v[6:7], s[6:7], v[4:5], v[2:3] neg_lo:[1,0,0] neg_hi:[1,0,0]
	s_add_i32 s4, s4, -1
	v_pk_mul_f32 v[4:5], v[4:5], v[6:7]
	s_cmp_eq_u32 s4, 0
	v_pk_fma_f32 v[6:7], s[6:7], v[4:5], v[2:3] neg_lo:[1,0,0] neg_hi:[1,0,0]
	s_nop 0
	v_pk_mul_f32 v[4:5], v[4:5], v[6:7]
	s_nop 0
	v_pk_fma_f32 v[6:7], s[6:7], v[4:5], v[2:3] neg_lo:[1,0,0] neg_hi:[1,0,0]
	s_nop 0
	v_pk_mul_f32 v[4:5], v[4:5], v[6:7]
	s_nop 0
	;; [unrolled: 4-line block ×78, first 2 shown]
	v_pk_fma_f32 v[6:7], s[6:7], v[4:5], v[2:3] neg_lo:[1,0,0] neg_hi:[1,0,0]
	s_nop 0
	v_pk_mul_f32 v[4:5], v[4:5], v[6:7]
	s_cbranch_scc0 .LBB13_2
.LBB13_3:
	v_add_f32_e32 v2, v5, v4
	global_store_dword v[0:1], v2, off
	s_endpgm
	.section	.rodata,"a",@progbits
	.p2align	6, 0x0
	.amdhsa_kernel _Z8MulMAdd2IfEvPT_iS0_S0_
		.amdhsa_group_segment_fixed_size 0
		.amdhsa_private_segment_fixed_size 0
		.amdhsa_kernarg_size 280
		.amdhsa_user_sgpr_count 2
		.amdhsa_user_sgpr_dispatch_ptr 0
		.amdhsa_user_sgpr_queue_ptr 0
		.amdhsa_user_sgpr_kernarg_segment_ptr 1
		.amdhsa_user_sgpr_dispatch_id 0
		.amdhsa_user_sgpr_kernarg_preload_length 0
		.amdhsa_user_sgpr_kernarg_preload_offset 0
		.amdhsa_user_sgpr_private_segment_size 0
		.amdhsa_uses_dynamic_stack 0
		.amdhsa_enable_private_segment 0
		.amdhsa_system_sgpr_workgroup_id_x 1
		.amdhsa_system_sgpr_workgroup_id_y 0
		.amdhsa_system_sgpr_workgroup_id_z 0
		.amdhsa_system_sgpr_workgroup_info 0
		.amdhsa_system_vgpr_workitem_id 0
		.amdhsa_next_free_vgpr 8
		.amdhsa_next_free_sgpr 10
		.amdhsa_accum_offset 8
		.amdhsa_reserve_vcc 0
		.amdhsa_float_round_mode_32 0
		.amdhsa_float_round_mode_16_64 0
		.amdhsa_float_denorm_mode_32 3
		.amdhsa_float_denorm_mode_16_64 3
		.amdhsa_dx10_clamp 1
		.amdhsa_ieee_mode 1
		.amdhsa_fp16_overflow 0
		.amdhsa_tg_split 0
		.amdhsa_exception_fp_ieee_invalid_op 0
		.amdhsa_exception_fp_denorm_src 0
		.amdhsa_exception_fp_ieee_div_zero 0
		.amdhsa_exception_fp_ieee_overflow 0
		.amdhsa_exception_fp_ieee_underflow 0
		.amdhsa_exception_fp_ieee_inexact 0
		.amdhsa_exception_int_div_zero 0
	.end_amdhsa_kernel
	.section	.text._Z8MulMAdd2IfEvPT_iS0_S0_,"axG",@progbits,_Z8MulMAdd2IfEvPT_iS0_S0_,comdat
.Lfunc_end13:
	.size	_Z8MulMAdd2IfEvPT_iS0_S0_, .Lfunc_end13-_Z8MulMAdd2IfEvPT_iS0_S0_
                                        ; -- End function
	.set _Z8MulMAdd2IfEvPT_iS0_S0_.num_vgpr, 8
	.set _Z8MulMAdd2IfEvPT_iS0_S0_.num_agpr, 0
	.set _Z8MulMAdd2IfEvPT_iS0_S0_.numbered_sgpr, 10
	.set _Z8MulMAdd2IfEvPT_iS0_S0_.num_named_barrier, 0
	.set _Z8MulMAdd2IfEvPT_iS0_S0_.private_seg_size, 0
	.set _Z8MulMAdd2IfEvPT_iS0_S0_.uses_vcc, 0
	.set _Z8MulMAdd2IfEvPT_iS0_S0_.uses_flat_scratch, 0
	.set _Z8MulMAdd2IfEvPT_iS0_S0_.has_dyn_sized_stack, 0
	.set _Z8MulMAdd2IfEvPT_iS0_S0_.has_recursion, 0
	.set _Z8MulMAdd2IfEvPT_iS0_S0_.has_indirect_call, 0
	.section	.AMDGPU.csdata,"",@progbits
; Kernel info:
; codeLenInByte = 2036
; TotalNumSgprs: 16
; NumVgprs: 8
; NumAgprs: 0
; TotalNumVgprs: 8
; ScratchSize: 0
; MemoryBound: 0
; FloatMode: 240
; IeeeMode: 1
; LDSByteSize: 0 bytes/workgroup (compile time only)
; SGPRBlocks: 1
; VGPRBlocks: 0
; NumSGPRsForWavesPerEU: 16
; NumVGPRsForWavesPerEU: 8
; AccumOffset: 8
; Occupancy: 8
; WaveLimiterHint : 0
; COMPUTE_PGM_RSRC2:SCRATCH_EN: 0
; COMPUTE_PGM_RSRC2:USER_SGPR: 2
; COMPUTE_PGM_RSRC2:TRAP_HANDLER: 0
; COMPUTE_PGM_RSRC2:TGID_X_EN: 1
; COMPUTE_PGM_RSRC2:TGID_Y_EN: 0
; COMPUTE_PGM_RSRC2:TGID_Z_EN: 0
; COMPUTE_PGM_RSRC2:TIDIG_COMP_CNT: 0
; COMPUTE_PGM_RSRC3_GFX90A:ACCUM_OFFSET: 1
; COMPUTE_PGM_RSRC3_GFX90A:TG_SPLIT: 0
	.section	.text._Z8MulMAdd4IfEvPT_iS0_S0_,"axG",@progbits,_Z8MulMAdd4IfEvPT_iS0_S0_,comdat
	.protected	_Z8MulMAdd4IfEvPT_iS0_S0_ ; -- Begin function _Z8MulMAdd4IfEvPT_iS0_S0_
	.globl	_Z8MulMAdd4IfEvPT_iS0_S0_
	.p2align	8
	.type	_Z8MulMAdd4IfEvPT_iS0_S0_,@function
_Z8MulMAdd4IfEvPT_iS0_S0_:              ; @_Z8MulMAdd4IfEvPT_iS0_S0_
; %bb.0:
	s_load_dword s3, s[0:1], 0x24
	s_load_dwordx2 s[8:9], s[0:1], 0x0
	s_load_dwordx4 s[4:7], s[0:1], 0x8
	s_waitcnt lgkmcnt(0)
	s_and_b32 s0, s3, 0xffff
	s_mul_i32 s2, s2, s0
	v_add_u32_e32 v0, s2, v0
	v_ashrrev_i32_e32 v1, 31, v0
	v_lshl_add_u64 v[0:1], v[0:1], 2, s[8:9]
	global_load_dword v6, v[0:1], off
	s_mov_b32 s0, 0x41200000
	s_mov_b32 s1, 0x41100000
	s_cmp_lt_i32 s4, 1
	s_waitcnt vmcnt(0)
	v_pk_add_f32 v[4:5], v[6:7], s[0:1] op_sel_hi:[0,1] neg_lo:[1,0] neg_hi:[1,0]
	v_sub_f32_e32 v7, 0x41100000, v4
	s_cbranch_scc1 .LBB14_3
; %bb.1:
	s_mov_b32 s0, s5
	s_mov_b32 s1, s5
	;; [unrolled: 1-line block ×3, first 2 shown]
	v_mov_b64_e32 v[2:3], s[0:1]
.LBB14_2:                               ; =>This Inner Loop Header: Depth=1
	v_pk_fma_f32 v[8:9], s[6:7], v[4:5], v[2:3] neg_lo:[1,0,0] neg_hi:[1,0,0]
	v_pk_fma_f32 v[10:11], s[6:7], v[6:7], v[2:3] neg_lo:[1,0,0] neg_hi:[1,0,0]
	v_pk_mul_f32 v[4:5], v[4:5], v[8:9]
	v_pk_mul_f32 v[6:7], v[6:7], v[10:11]
	v_pk_fma_f32 v[8:9], s[6:7], v[4:5], v[2:3] neg_lo:[1,0,0] neg_hi:[1,0,0]
	v_pk_fma_f32 v[10:11], s[6:7], v[6:7], v[2:3] neg_lo:[1,0,0] neg_hi:[1,0,0]
	v_pk_mul_f32 v[4:5], v[4:5], v[8:9]
	v_pk_mul_f32 v[6:7], v[6:7], v[10:11]
	;; [unrolled: 4-line block ×31, first 2 shown]
	v_pk_fma_f32 v[8:9], s[6:7], v[4:5], v[2:3] neg_lo:[1,0,0] neg_hi:[1,0,0]
	s_add_i32 s4, s4, -1
	v_pk_mul_f32 v[4:5], v[4:5], v[8:9]
	s_cmp_eq_u32 s4, 0
	v_pk_fma_f32 v[8:9], s[6:7], v[4:5], v[2:3] neg_lo:[1,0,0] neg_hi:[1,0,0]
	s_nop 0
	v_pk_mul_f32 v[4:5], v[4:5], v[8:9]
	s_nop 0
	v_pk_fma_f32 v[8:9], s[6:7], v[4:5], v[2:3] neg_lo:[1,0,0] neg_hi:[1,0,0]
	s_nop 0
	v_pk_mul_f32 v[4:5], v[4:5], v[8:9]
	s_nop 0
	;; [unrolled: 4-line block ×7, first 2 shown]
	v_pk_fma_f32 v[8:9], s[6:7], v[4:5], v[2:3] neg_lo:[1,0,0] neg_hi:[1,0,0]
	s_nop 0
	v_pk_mul_f32 v[4:5], v[4:5], v[8:9]
	v_pk_fma_f32 v[8:9], s[6:7], v[6:7], v[2:3] neg_lo:[1,0,0] neg_hi:[1,0,0]
	s_nop 0
	v_pk_mul_f32 v[6:7], v[6:7], v[8:9]
	s_nop 0
	v_pk_fma_f32 v[8:9], s[6:7], v[6:7], v[2:3] neg_lo:[1,0,0] neg_hi:[1,0,0]
	s_nop 0
	v_pk_mul_f32 v[6:7], v[6:7], v[8:9]
	s_nop 0
	;; [unrolled: 4-line block ×8, first 2 shown]
	v_pk_fma_f32 v[8:9], s[6:7], v[6:7], v[2:3] neg_lo:[1,0,0] neg_hi:[1,0,0]
	s_nop 0
	v_pk_mul_f32 v[6:7], v[6:7], v[8:9]
	s_cbranch_scc0 .LBB14_2
.LBB14_3:
	v_pk_add_f32 v[2:3], v[6:7], v[4:5]
	s_nop 0
	v_add_f32_e32 v2, v2, v3
	global_store_dword v[0:1], v2, off
	s_endpgm
	.section	.rodata,"a",@progbits
	.p2align	6, 0x0
	.amdhsa_kernel _Z8MulMAdd4IfEvPT_iS0_S0_
		.amdhsa_group_segment_fixed_size 0
		.amdhsa_private_segment_fixed_size 0
		.amdhsa_kernarg_size 280
		.amdhsa_user_sgpr_count 2
		.amdhsa_user_sgpr_dispatch_ptr 0
		.amdhsa_user_sgpr_queue_ptr 0
		.amdhsa_user_sgpr_kernarg_segment_ptr 1
		.amdhsa_user_sgpr_dispatch_id 0
		.amdhsa_user_sgpr_kernarg_preload_length 0
		.amdhsa_user_sgpr_kernarg_preload_offset 0
		.amdhsa_user_sgpr_private_segment_size 0
		.amdhsa_uses_dynamic_stack 0
		.amdhsa_enable_private_segment 0
		.amdhsa_system_sgpr_workgroup_id_x 1
		.amdhsa_system_sgpr_workgroup_id_y 0
		.amdhsa_system_sgpr_workgroup_id_z 0
		.amdhsa_system_sgpr_workgroup_info 0
		.amdhsa_system_vgpr_workitem_id 0
		.amdhsa_next_free_vgpr 12
		.amdhsa_next_free_sgpr 10
		.amdhsa_accum_offset 12
		.amdhsa_reserve_vcc 0
		.amdhsa_float_round_mode_32 0
		.amdhsa_float_round_mode_16_64 0
		.amdhsa_float_denorm_mode_32 3
		.amdhsa_float_denorm_mode_16_64 3
		.amdhsa_dx10_clamp 1
		.amdhsa_ieee_mode 1
		.amdhsa_fp16_overflow 0
		.amdhsa_tg_split 0
		.amdhsa_exception_fp_ieee_invalid_op 0
		.amdhsa_exception_fp_denorm_src 0
		.amdhsa_exception_fp_ieee_div_zero 0
		.amdhsa_exception_fp_ieee_overflow 0
		.amdhsa_exception_fp_ieee_underflow 0
		.amdhsa_exception_fp_ieee_inexact 0
		.amdhsa_exception_int_div_zero 0
	.end_amdhsa_kernel
	.section	.text._Z8MulMAdd4IfEvPT_iS0_S0_,"axG",@progbits,_Z8MulMAdd4IfEvPT_iS0_S0_,comdat
.Lfunc_end14:
	.size	_Z8MulMAdd4IfEvPT_iS0_S0_, .Lfunc_end14-_Z8MulMAdd4IfEvPT_iS0_S0_
                                        ; -- End function
	.set _Z8MulMAdd4IfEvPT_iS0_S0_.num_vgpr, 12
	.set _Z8MulMAdd4IfEvPT_iS0_S0_.num_agpr, 0
	.set _Z8MulMAdd4IfEvPT_iS0_S0_.numbered_sgpr, 10
	.set _Z8MulMAdd4IfEvPT_iS0_S0_.num_named_barrier, 0
	.set _Z8MulMAdd4IfEvPT_iS0_S0_.private_seg_size, 0
	.set _Z8MulMAdd4IfEvPT_iS0_S0_.uses_vcc, 0
	.set _Z8MulMAdd4IfEvPT_iS0_S0_.uses_flat_scratch, 0
	.set _Z8MulMAdd4IfEvPT_iS0_S0_.has_dyn_sized_stack, 0
	.set _Z8MulMAdd4IfEvPT_iS0_S0_.has_recursion, 0
	.set _Z8MulMAdd4IfEvPT_iS0_S0_.has_indirect_call, 0
	.section	.AMDGPU.csdata,"",@progbits
; Kernel info:
; codeLenInByte = 1572
; TotalNumSgprs: 16
; NumVgprs: 12
; NumAgprs: 0
; TotalNumVgprs: 12
; ScratchSize: 0
; MemoryBound: 0
; FloatMode: 240
; IeeeMode: 1
; LDSByteSize: 0 bytes/workgroup (compile time only)
; SGPRBlocks: 1
; VGPRBlocks: 1
; NumSGPRsForWavesPerEU: 16
; NumVGPRsForWavesPerEU: 12
; AccumOffset: 12
; Occupancy: 8
; WaveLimiterHint : 0
; COMPUTE_PGM_RSRC2:SCRATCH_EN: 0
; COMPUTE_PGM_RSRC2:USER_SGPR: 2
; COMPUTE_PGM_RSRC2:TRAP_HANDLER: 0
; COMPUTE_PGM_RSRC2:TGID_X_EN: 1
; COMPUTE_PGM_RSRC2:TGID_Y_EN: 0
; COMPUTE_PGM_RSRC2:TGID_Z_EN: 0
; COMPUTE_PGM_RSRC2:TIDIG_COMP_CNT: 0
; COMPUTE_PGM_RSRC3_GFX90A:ACCUM_OFFSET: 2
; COMPUTE_PGM_RSRC3_GFX90A:TG_SPLIT: 0
	.section	.text._Z8MulMAdd8IfEvPT_iS0_S0_,"axG",@progbits,_Z8MulMAdd8IfEvPT_iS0_S0_,comdat
	.protected	_Z8MulMAdd8IfEvPT_iS0_S0_ ; -- Begin function _Z8MulMAdd8IfEvPT_iS0_S0_
	.globl	_Z8MulMAdd8IfEvPT_iS0_S0_
	.p2align	8
	.type	_Z8MulMAdd8IfEvPT_iS0_S0_,@function
_Z8MulMAdd8IfEvPT_iS0_S0_:              ; @_Z8MulMAdd8IfEvPT_iS0_S0_
; %bb.0:
	s_load_dword s3, s[0:1], 0x24
	s_load_dwordx2 s[8:9], s[0:1], 0x0
	s_load_dwordx4 s[4:7], s[0:1], 0x8
	s_waitcnt lgkmcnt(0)
	s_and_b32 s0, s3, 0xffff
	s_mul_i32 s2, s2, s0
	v_add_u32_e32 v0, s2, v0
	v_ashrrev_i32_e32 v1, 31, v0
	v_lshl_add_u64 v[0:1], v[0:1], 2, s[8:9]
	global_load_dword v10, v[0:1], off
	s_mov_b32 s0, 0x41200000
	s_mov_b32 s1, 0x41100000
	;; [unrolled: 1-line block ×6, first 2 shown]
	s_cmp_lt_i32 s4, 1
	s_waitcnt vmcnt(0)
	v_pk_add_f32 v[4:5], v[10:11], s[0:1] op_sel_hi:[0,1] neg_lo:[1,0] neg_hi:[1,0]
	v_mov_b32_e32 v3, v10
	v_mov_b32_e32 v2, v4
	v_pk_add_f32 v[6:7], v[2:3], s[2:3] neg_lo:[1,0] neg_hi:[1,0]
	v_pk_add_f32 v[8:9], v[2:3], s[8:9] neg_lo:[1,0] neg_hi:[1,0]
	v_sub_f32_e32 v11, 0x40e00000, v4
	s_cbranch_scc1 .LBB15_3
; %bb.1:
	s_mov_b32 s0, s5
	s_mov_b32 s1, s5
	;; [unrolled: 1-line block ×3, first 2 shown]
	v_mov_b64_e32 v[2:3], s[0:1]
.LBB15_2:                               ; =>This Inner Loop Header: Depth=1
	v_pk_fma_f32 v[12:13], s[6:7], v[4:5], v[2:3] neg_lo:[1,0,0] neg_hi:[1,0,0]
	v_pk_fma_f32 v[14:15], s[6:7], v[6:7], v[2:3] neg_lo:[1,0,0] neg_hi:[1,0,0]
	v_pk_mul_f32 v[4:5], v[4:5], v[12:13]
	v_pk_mul_f32 v[6:7], v[6:7], v[14:15]
	v_pk_fma_f32 v[12:13], s[6:7], v[4:5], v[2:3] neg_lo:[1,0,0] neg_hi:[1,0,0]
	v_pk_fma_f32 v[14:15], s[6:7], v[6:7], v[2:3] neg_lo:[1,0,0] neg_hi:[1,0,0]
	v_pk_mul_f32 v[4:5], v[4:5], v[12:13]
	v_pk_mul_f32 v[6:7], v[6:7], v[14:15]
	;; [unrolled: 4-line block ×9, first 2 shown]
	v_pk_fma_f32 v[12:13], s[6:7], v[4:5], v[2:3] neg_lo:[1,0,0] neg_hi:[1,0,0]
	v_pk_fma_f32 v[14:15], s[6:7], v[6:7], v[2:3] neg_lo:[1,0,0] neg_hi:[1,0,0]
	v_pk_mul_f32 v[4:5], v[4:5], v[12:13]
	v_pk_fma_f32 v[16:17], s[6:7], v[8:9], v[2:3] neg_lo:[1,0,0] neg_hi:[1,0,0]
	v_pk_fma_f32 v[12:13], s[6:7], v[4:5], v[2:3] neg_lo:[1,0,0] neg_hi:[1,0,0]
	v_pk_mul_f32 v[6:7], v[6:7], v[14:15]
	v_pk_mul_f32 v[4:5], v[4:5], v[12:13]
	v_pk_mul_f32 v[8:9], v[8:9], v[16:17]
	v_pk_fma_f32 v[12:13], s[6:7], v[4:5], v[2:3] neg_lo:[1,0,0] neg_hi:[1,0,0]
	v_pk_fma_f32 v[16:17], s[6:7], v[8:9], v[2:3] neg_lo:[1,0,0] neg_hi:[1,0,0]
	v_pk_mul_f32 v[4:5], v[4:5], v[12:13]
	v_pk_mul_f32 v[8:9], v[8:9], v[16:17]
	v_pk_fma_f32 v[12:13], s[6:7], v[4:5], v[2:3] neg_lo:[1,0,0] neg_hi:[1,0,0]
	v_pk_fma_f32 v[16:17], s[6:7], v[8:9], v[2:3] neg_lo:[1,0,0] neg_hi:[1,0,0]
	v_pk_mul_f32 v[4:5], v[4:5], v[12:13]
	v_pk_mul_f32 v[8:9], v[8:9], v[16:17]
	;; [unrolled: 4-line block ×6, first 2 shown]
	v_pk_fma_f32 v[12:13], s[6:7], v[4:5], v[2:3] neg_lo:[1,0,0] neg_hi:[1,0,0]
	v_pk_fma_f32 v[16:17], s[6:7], v[8:9], v[2:3] neg_lo:[1,0,0] neg_hi:[1,0,0]
	v_pk_mul_f32 v[4:5], v[4:5], v[12:13]
	v_pk_fma_f32 v[18:19], s[6:7], v[10:11], v[2:3] neg_lo:[1,0,0] neg_hi:[1,0,0]
	v_pk_fma_f32 v[12:13], s[6:7], v[4:5], v[2:3] neg_lo:[1,0,0] neg_hi:[1,0,0]
	v_pk_mul_f32 v[8:9], v[8:9], v[16:17]
	v_pk_mul_f32 v[4:5], v[4:5], v[12:13]
	;; [unrolled: 1-line block ×3, first 2 shown]
	v_pk_fma_f32 v[12:13], s[6:7], v[4:5], v[2:3] neg_lo:[1,0,0] neg_hi:[1,0,0]
	v_pk_fma_f32 v[16:17], s[6:7], v[8:9], v[2:3] neg_lo:[1,0,0] neg_hi:[1,0,0]
	v_pk_mul_f32 v[4:5], v[4:5], v[12:13]
	v_pk_fma_f32 v[12:13], s[6:7], v[6:7], v[2:3] neg_lo:[1,0,0] neg_hi:[1,0,0]
	v_pk_fma_f32 v[18:19], s[6:7], v[10:11], v[2:3] neg_lo:[1,0,0] neg_hi:[1,0,0]
	v_pk_mul_f32 v[6:7], v[6:7], v[12:13]
	v_pk_mul_f32 v[8:9], v[8:9], v[16:17]
	v_pk_fma_f32 v[12:13], s[6:7], v[6:7], v[2:3] neg_lo:[1,0,0] neg_hi:[1,0,0]
	v_pk_mul_f32 v[10:11], v[10:11], v[18:19]
	v_pk_mul_f32 v[6:7], v[6:7], v[12:13]
	v_pk_fma_f32 v[16:17], s[6:7], v[8:9], v[2:3] neg_lo:[1,0,0] neg_hi:[1,0,0]
	v_pk_fma_f32 v[12:13], s[6:7], v[6:7], v[2:3] neg_lo:[1,0,0] neg_hi:[1,0,0]
	;; [unrolled: 1-line block ×3, first 2 shown]
	v_pk_mul_f32 v[6:7], v[6:7], v[12:13]
	v_pk_mul_f32 v[8:9], v[8:9], v[16:17]
	v_pk_fma_f32 v[12:13], s[6:7], v[6:7], v[2:3] neg_lo:[1,0,0] neg_hi:[1,0,0]
	v_pk_mul_f32 v[10:11], v[10:11], v[18:19]
	v_pk_mul_f32 v[6:7], v[6:7], v[12:13]
	v_pk_fma_f32 v[18:19], s[6:7], v[10:11], v[2:3] neg_lo:[1,0,0] neg_hi:[1,0,0]
	v_pk_fma_f32 v[12:13], s[6:7], v[6:7], v[2:3] neg_lo:[1,0,0] neg_hi:[1,0,0]
	v_pk_mul_f32 v[10:11], v[10:11], v[18:19]
	v_pk_mul_f32 v[6:7], v[6:7], v[12:13]
	v_pk_fma_f32 v[18:19], s[6:7], v[10:11], v[2:3] neg_lo:[1,0,0] neg_hi:[1,0,0]
	;; [unrolled: 4-line block ×10, first 2 shown]
	s_add_i32 s4, s4, -1
	v_pk_mul_f32 v[8:9], v[8:9], v[12:13]
	s_cmp_eq_u32 s4, 0
	v_pk_fma_f32 v[12:13], s[6:7], v[8:9], v[2:3] neg_lo:[1,0,0] neg_hi:[1,0,0]
	s_nop 0
	v_pk_mul_f32 v[8:9], v[8:9], v[12:13]
	s_nop 0
	v_pk_fma_f32 v[12:13], s[6:7], v[8:9], v[2:3] neg_lo:[1,0,0] neg_hi:[1,0,0]
	s_nop 0
	v_pk_mul_f32 v[8:9], v[8:9], v[12:13]
	s_nop 0
	v_pk_fma_f32 v[12:13], s[6:7], v[8:9], v[2:3] neg_lo:[1,0,0] neg_hi:[1,0,0]
	s_nop 0
	v_pk_mul_f32 v[8:9], v[8:9], v[12:13]
	s_nop 0
	v_pk_fma_f32 v[12:13], s[6:7], v[8:9], v[2:3] neg_lo:[1,0,0] neg_hi:[1,0,0]
	s_nop 0
	v_pk_mul_f32 v[8:9], v[8:9], v[12:13]
	s_nop 0
	v_pk_fma_f32 v[12:13], s[6:7], v[8:9], v[2:3] neg_lo:[1,0,0] neg_hi:[1,0,0]
	s_nop 0
	v_pk_mul_f32 v[8:9], v[8:9], v[12:13]
	s_nop 0
	v_pk_fma_f32 v[12:13], s[6:7], v[8:9], v[2:3] neg_lo:[1,0,0] neg_hi:[1,0,0]
	s_nop 0
	v_pk_mul_f32 v[8:9], v[8:9], v[12:13]
	v_pk_fma_f32 v[12:13], s[6:7], v[10:11], v[2:3] neg_lo:[1,0,0] neg_hi:[1,0,0]
	s_nop 0
	v_pk_mul_f32 v[10:11], v[10:11], v[12:13]
	s_nop 0
	v_pk_fma_f32 v[12:13], s[6:7], v[10:11], v[2:3] neg_lo:[1,0,0] neg_hi:[1,0,0]
	s_nop 0
	v_pk_mul_f32 v[10:11], v[10:11], v[12:13]
	s_nop 0
	;; [unrolled: 4-line block ×7, first 2 shown]
	v_pk_fma_f32 v[12:13], s[6:7], v[10:11], v[2:3] neg_lo:[1,0,0] neg_hi:[1,0,0]
	s_nop 0
	v_pk_mul_f32 v[10:11], v[10:11], v[12:13]
	s_cbranch_scc0 .LBB15_2
.LBB15_3:
	v_pk_mov_b32 v[2:3], v[4:5], v[8:9] op_sel:[1,0]
	v_mov_b32_e32 v5, v9
	v_pk_add_f32 v[2:3], v[6:7], v[2:3]
	v_pk_add_f32 v[4:5], v[10:11], v[4:5]
	s_nop 0
	v_pk_add_f32 v[2:3], v[2:3], v[4:5]
	s_nop 0
	v_add_f32_e32 v2, v2, v3
	global_store_dword v[0:1], v2, off
	s_endpgm
	.section	.rodata,"a",@progbits
	.p2align	6, 0x0
	.amdhsa_kernel _Z8MulMAdd8IfEvPT_iS0_S0_
		.amdhsa_group_segment_fixed_size 0
		.amdhsa_private_segment_fixed_size 0
		.amdhsa_kernarg_size 280
		.amdhsa_user_sgpr_count 2
		.amdhsa_user_sgpr_dispatch_ptr 0
		.amdhsa_user_sgpr_queue_ptr 0
		.amdhsa_user_sgpr_kernarg_segment_ptr 1
		.amdhsa_user_sgpr_dispatch_id 0
		.amdhsa_user_sgpr_kernarg_preload_length 0
		.amdhsa_user_sgpr_kernarg_preload_offset 0
		.amdhsa_user_sgpr_private_segment_size 0
		.amdhsa_uses_dynamic_stack 0
		.amdhsa_enable_private_segment 0
		.amdhsa_system_sgpr_workgroup_id_x 1
		.amdhsa_system_sgpr_workgroup_id_y 0
		.amdhsa_system_sgpr_workgroup_id_z 0
		.amdhsa_system_sgpr_workgroup_info 0
		.amdhsa_system_vgpr_workitem_id 0
		.amdhsa_next_free_vgpr 20
		.amdhsa_next_free_sgpr 10
		.amdhsa_accum_offset 20
		.amdhsa_reserve_vcc 0
		.amdhsa_float_round_mode_32 0
		.amdhsa_float_round_mode_16_64 0
		.amdhsa_float_denorm_mode_32 3
		.amdhsa_float_denorm_mode_16_64 3
		.amdhsa_dx10_clamp 1
		.amdhsa_ieee_mode 1
		.amdhsa_fp16_overflow 0
		.amdhsa_tg_split 0
		.amdhsa_exception_fp_ieee_invalid_op 0
		.amdhsa_exception_fp_denorm_src 0
		.amdhsa_exception_fp_ieee_div_zero 0
		.amdhsa_exception_fp_ieee_overflow 0
		.amdhsa_exception_fp_ieee_underflow 0
		.amdhsa_exception_fp_ieee_inexact 0
		.amdhsa_exception_int_div_zero 0
	.end_amdhsa_kernel
	.section	.text._Z8MulMAdd8IfEvPT_iS0_S0_,"axG",@progbits,_Z8MulMAdd8IfEvPT_iS0_S0_,comdat
.Lfunc_end15:
	.size	_Z8MulMAdd8IfEvPT_iS0_S0_, .Lfunc_end15-_Z8MulMAdd8IfEvPT_iS0_S0_
                                        ; -- End function
	.set _Z8MulMAdd8IfEvPT_iS0_S0_.num_vgpr, 20
	.set _Z8MulMAdd8IfEvPT_iS0_S0_.num_agpr, 0
	.set _Z8MulMAdd8IfEvPT_iS0_S0_.numbered_sgpr, 10
	.set _Z8MulMAdd8IfEvPT_iS0_S0_.num_named_barrier, 0
	.set _Z8MulMAdd8IfEvPT_iS0_S0_.private_seg_size, 0
	.set _Z8MulMAdd8IfEvPT_iS0_S0_.uses_vcc, 0
	.set _Z8MulMAdd8IfEvPT_iS0_S0_.uses_flat_scratch, 0
	.set _Z8MulMAdd8IfEvPT_iS0_S0_.has_dyn_sized_stack, 0
	.set _Z8MulMAdd8IfEvPT_iS0_S0_.has_recursion, 0
	.set _Z8MulMAdd8IfEvPT_iS0_S0_.has_indirect_call, 0
	.section	.AMDGPU.csdata,"",@progbits
; Kernel info:
; codeLenInByte = 1628
; TotalNumSgprs: 16
; NumVgprs: 20
; NumAgprs: 0
; TotalNumVgprs: 20
; ScratchSize: 0
; MemoryBound: 0
; FloatMode: 240
; IeeeMode: 1
; LDSByteSize: 0 bytes/workgroup (compile time only)
; SGPRBlocks: 1
; VGPRBlocks: 2
; NumSGPRsForWavesPerEU: 16
; NumVGPRsForWavesPerEU: 20
; AccumOffset: 20
; Occupancy: 8
; WaveLimiterHint : 0
; COMPUTE_PGM_RSRC2:SCRATCH_EN: 0
; COMPUTE_PGM_RSRC2:USER_SGPR: 2
; COMPUTE_PGM_RSRC2:TRAP_HANDLER: 0
; COMPUTE_PGM_RSRC2:TGID_X_EN: 1
; COMPUTE_PGM_RSRC2:TGID_Y_EN: 0
; COMPUTE_PGM_RSRC2:TGID_Z_EN: 0
; COMPUTE_PGM_RSRC2:TIDIG_COMP_CNT: 0
; COMPUTE_PGM_RSRC3_GFX90A:ACCUM_OFFSET: 4
; COMPUTE_PGM_RSRC3_GFX90A:TG_SPLIT: 0
	.section	.text._Z4Add1IdEvPT_iS0_,"axG",@progbits,_Z4Add1IdEvPT_iS0_,comdat
	.protected	_Z4Add1IdEvPT_iS0_      ; -- Begin function _Z4Add1IdEvPT_iS0_
	.globl	_Z4Add1IdEvPT_iS0_
	.p2align	8
	.type	_Z4Add1IdEvPT_iS0_,@function
_Z4Add1IdEvPT_iS0_:                     ; @_Z4Add1IdEvPT_iS0_
; %bb.0:
	s_load_dword s6, s[0:1], 0x24
	s_load_dwordx2 s[4:5], s[0:1], 0x0
	s_load_dword s3, s[0:1], 0x8
	s_waitcnt lgkmcnt(0)
	s_and_b32 s6, s6, 0xffff
	s_mul_i32 s2, s2, s6
	v_add_u32_e32 v0, s2, v0
	v_ashrrev_i32_e32 v1, 31, v0
	v_lshl_add_u64 v[0:1], v[0:1], 3, s[4:5]
	global_load_dwordx2 v[2:3], v[0:1], off
	s_cmp_lt_i32 s3, 1
	s_cbranch_scc1 .LBB16_3
; %bb.1:
	s_load_dwordx2 s[0:1], s[0:1], 0x10
.LBB16_2:                               ; =>This Inner Loop Header: Depth=1
	s_waitcnt vmcnt(0) lgkmcnt(0)
	v_add_f64 v[2:3], s[0:1], -v[2:3]
	v_add_f64 v[2:3], s[0:1], -v[2:3]
	;; [unrolled: 1-line block ×239, first 2 shown]
	s_add_i32 s3, s3, -1
	s_cmp_eq_u32 s3, 0
	v_add_f64 v[2:3], s[0:1], -v[2:3]
	s_cbranch_scc0 .LBB16_2
.LBB16_3:
	s_waitcnt vmcnt(0)
	global_store_dwordx2 v[0:1], v[2:3], off
	s_endpgm
	.section	.rodata,"a",@progbits
	.p2align	6, 0x0
	.amdhsa_kernel _Z4Add1IdEvPT_iS0_
		.amdhsa_group_segment_fixed_size 0
		.amdhsa_private_segment_fixed_size 0
		.amdhsa_kernarg_size 280
		.amdhsa_user_sgpr_count 2
		.amdhsa_user_sgpr_dispatch_ptr 0
		.amdhsa_user_sgpr_queue_ptr 0
		.amdhsa_user_sgpr_kernarg_segment_ptr 1
		.amdhsa_user_sgpr_dispatch_id 0
		.amdhsa_user_sgpr_kernarg_preload_length 0
		.amdhsa_user_sgpr_kernarg_preload_offset 0
		.amdhsa_user_sgpr_private_segment_size 0
		.amdhsa_uses_dynamic_stack 0
		.amdhsa_enable_private_segment 0
		.amdhsa_system_sgpr_workgroup_id_x 1
		.amdhsa_system_sgpr_workgroup_id_y 0
		.amdhsa_system_sgpr_workgroup_id_z 0
		.amdhsa_system_sgpr_workgroup_info 0
		.amdhsa_system_vgpr_workitem_id 0
		.amdhsa_next_free_vgpr 4
		.amdhsa_next_free_sgpr 7
		.amdhsa_accum_offset 4
		.amdhsa_reserve_vcc 0
		.amdhsa_float_round_mode_32 0
		.amdhsa_float_round_mode_16_64 0
		.amdhsa_float_denorm_mode_32 3
		.amdhsa_float_denorm_mode_16_64 3
		.amdhsa_dx10_clamp 1
		.amdhsa_ieee_mode 1
		.amdhsa_fp16_overflow 0
		.amdhsa_tg_split 0
		.amdhsa_exception_fp_ieee_invalid_op 0
		.amdhsa_exception_fp_denorm_src 0
		.amdhsa_exception_fp_ieee_div_zero 0
		.amdhsa_exception_fp_ieee_overflow 0
		.amdhsa_exception_fp_ieee_underflow 0
		.amdhsa_exception_fp_ieee_inexact 0
		.amdhsa_exception_int_div_zero 0
	.end_amdhsa_kernel
	.section	.text._Z4Add1IdEvPT_iS0_,"axG",@progbits,_Z4Add1IdEvPT_iS0_,comdat
.Lfunc_end16:
	.size	_Z4Add1IdEvPT_iS0_, .Lfunc_end16-_Z4Add1IdEvPT_iS0_
                                        ; -- End function
	.set _Z4Add1IdEvPT_iS0_.num_vgpr, 4
	.set _Z4Add1IdEvPT_iS0_.num_agpr, 0
	.set _Z4Add1IdEvPT_iS0_.numbered_sgpr, 7
	.set _Z4Add1IdEvPT_iS0_.num_named_barrier, 0
	.set _Z4Add1IdEvPT_iS0_.private_seg_size, 0
	.set _Z4Add1IdEvPT_iS0_.uses_vcc, 0
	.set _Z4Add1IdEvPT_iS0_.uses_flat_scratch, 0
	.set _Z4Add1IdEvPT_iS0_.has_dyn_sized_stack, 0
	.set _Z4Add1IdEvPT_iS0_.has_recursion, 0
	.set _Z4Add1IdEvPT_iS0_.has_indirect_call, 0
	.section	.AMDGPU.csdata,"",@progbits
; Kernel info:
; codeLenInByte = 2032
; TotalNumSgprs: 13
; NumVgprs: 4
; NumAgprs: 0
; TotalNumVgprs: 4
; ScratchSize: 0
; MemoryBound: 0
; FloatMode: 240
; IeeeMode: 1
; LDSByteSize: 0 bytes/workgroup (compile time only)
; SGPRBlocks: 1
; VGPRBlocks: 0
; NumSGPRsForWavesPerEU: 13
; NumVGPRsForWavesPerEU: 4
; AccumOffset: 4
; Occupancy: 8
; WaveLimiterHint : 0
; COMPUTE_PGM_RSRC2:SCRATCH_EN: 0
; COMPUTE_PGM_RSRC2:USER_SGPR: 2
; COMPUTE_PGM_RSRC2:TRAP_HANDLER: 0
; COMPUTE_PGM_RSRC2:TGID_X_EN: 1
; COMPUTE_PGM_RSRC2:TGID_Y_EN: 0
; COMPUTE_PGM_RSRC2:TGID_Z_EN: 0
; COMPUTE_PGM_RSRC2:TIDIG_COMP_CNT: 0
; COMPUTE_PGM_RSRC3_GFX90A:ACCUM_OFFSET: 0
; COMPUTE_PGM_RSRC3_GFX90A:TG_SPLIT: 0
	.section	.text._Z4Add2IdEvPT_iS0_,"axG",@progbits,_Z4Add2IdEvPT_iS0_,comdat
	.protected	_Z4Add2IdEvPT_iS0_      ; -- Begin function _Z4Add2IdEvPT_iS0_
	.globl	_Z4Add2IdEvPT_iS0_
	.p2align	8
	.type	_Z4Add2IdEvPT_iS0_,@function
_Z4Add2IdEvPT_iS0_:                     ; @_Z4Add2IdEvPT_iS0_
; %bb.0:
	s_load_dword s6, s[0:1], 0x24
	s_load_dwordx2 s[4:5], s[0:1], 0x0
	s_load_dword s3, s[0:1], 0x8
	s_waitcnt lgkmcnt(0)
	s_and_b32 s6, s6, 0xffff
	s_mul_i32 s2, s2, s6
	v_add_u32_e32 v0, s2, v0
	v_ashrrev_i32_e32 v1, 31, v0
	v_lshl_add_u64 v[0:1], v[0:1], 3, s[4:5]
	global_load_dwordx2 v[2:3], v[0:1], off
	s_mov_b32 s4, 0
	s_mov_b32 s5, 0x40240000
	s_cmp_lt_i32 s3, 1
	s_waitcnt vmcnt(0)
	v_add_f64 v[4:5], -v[2:3], s[4:5]
	s_cbranch_scc1 .LBB17_3
; %bb.1:
	s_load_dwordx2 s[0:1], s[0:1], 0x10
.LBB17_2:                               ; =>This Inner Loop Header: Depth=1
	s_waitcnt lgkmcnt(0)
	v_add_f64 v[2:3], s[0:1], -v[2:3]
	v_add_f64 v[4:5], s[0:1], -v[4:5]
	;; [unrolled: 1-line block ×238, first 2 shown]
	s_add_i32 s3, s3, -1
	v_add_f64 v[2:3], s[0:1], -v[2:3]
	s_cmp_eq_u32 s3, 0
	v_add_f64 v[4:5], s[0:1], -v[4:5]
	s_cbranch_scc0 .LBB17_2
.LBB17_3:
	v_add_f64 v[2:3], v[2:3], v[4:5]
	global_store_dwordx2 v[0:1], v[2:3], off
	s_endpgm
	.section	.rodata,"a",@progbits
	.p2align	6, 0x0
	.amdhsa_kernel _Z4Add2IdEvPT_iS0_
		.amdhsa_group_segment_fixed_size 0
		.amdhsa_private_segment_fixed_size 0
		.amdhsa_kernarg_size 280
		.amdhsa_user_sgpr_count 2
		.amdhsa_user_sgpr_dispatch_ptr 0
		.amdhsa_user_sgpr_queue_ptr 0
		.amdhsa_user_sgpr_kernarg_segment_ptr 1
		.amdhsa_user_sgpr_dispatch_id 0
		.amdhsa_user_sgpr_kernarg_preload_length 0
		.amdhsa_user_sgpr_kernarg_preload_offset 0
		.amdhsa_user_sgpr_private_segment_size 0
		.amdhsa_uses_dynamic_stack 0
		.amdhsa_enable_private_segment 0
		.amdhsa_system_sgpr_workgroup_id_x 1
		.amdhsa_system_sgpr_workgroup_id_y 0
		.amdhsa_system_sgpr_workgroup_id_z 0
		.amdhsa_system_sgpr_workgroup_info 0
		.amdhsa_system_vgpr_workitem_id 0
		.amdhsa_next_free_vgpr 6
		.amdhsa_next_free_sgpr 7
		.amdhsa_accum_offset 8
		.amdhsa_reserve_vcc 0
		.amdhsa_float_round_mode_32 0
		.amdhsa_float_round_mode_16_64 0
		.amdhsa_float_denorm_mode_32 3
		.amdhsa_float_denorm_mode_16_64 3
		.amdhsa_dx10_clamp 1
		.amdhsa_ieee_mode 1
		.amdhsa_fp16_overflow 0
		.amdhsa_tg_split 0
		.amdhsa_exception_fp_ieee_invalid_op 0
		.amdhsa_exception_fp_denorm_src 0
		.amdhsa_exception_fp_ieee_div_zero 0
		.amdhsa_exception_fp_ieee_overflow 0
		.amdhsa_exception_fp_ieee_underflow 0
		.amdhsa_exception_fp_ieee_inexact 0
		.amdhsa_exception_int_div_zero 0
	.end_amdhsa_kernel
	.section	.text._Z4Add2IdEvPT_iS0_,"axG",@progbits,_Z4Add2IdEvPT_iS0_,comdat
.Lfunc_end17:
	.size	_Z4Add2IdEvPT_iS0_, .Lfunc_end17-_Z4Add2IdEvPT_iS0_
                                        ; -- End function
	.set _Z4Add2IdEvPT_iS0_.num_vgpr, 6
	.set _Z4Add2IdEvPT_iS0_.num_agpr, 0
	.set _Z4Add2IdEvPT_iS0_.numbered_sgpr, 7
	.set _Z4Add2IdEvPT_iS0_.num_named_barrier, 0
	.set _Z4Add2IdEvPT_iS0_.private_seg_size, 0
	.set _Z4Add2IdEvPT_iS0_.uses_vcc, 0
	.set _Z4Add2IdEvPT_iS0_.uses_flat_scratch, 0
	.set _Z4Add2IdEvPT_iS0_.has_dyn_sized_stack, 0
	.set _Z4Add2IdEvPT_iS0_.has_recursion, 0
	.set _Z4Add2IdEvPT_iS0_.has_indirect_call, 0
	.section	.AMDGPU.csdata,"",@progbits
; Kernel info:
; codeLenInByte = 2060
; TotalNumSgprs: 13
; NumVgprs: 6
; NumAgprs: 0
; TotalNumVgprs: 6
; ScratchSize: 0
; MemoryBound: 0
; FloatMode: 240
; IeeeMode: 1
; LDSByteSize: 0 bytes/workgroup (compile time only)
; SGPRBlocks: 1
; VGPRBlocks: 0
; NumSGPRsForWavesPerEU: 13
; NumVGPRsForWavesPerEU: 6
; AccumOffset: 8
; Occupancy: 8
; WaveLimiterHint : 0
; COMPUTE_PGM_RSRC2:SCRATCH_EN: 0
; COMPUTE_PGM_RSRC2:USER_SGPR: 2
; COMPUTE_PGM_RSRC2:TRAP_HANDLER: 0
; COMPUTE_PGM_RSRC2:TGID_X_EN: 1
; COMPUTE_PGM_RSRC2:TGID_Y_EN: 0
; COMPUTE_PGM_RSRC2:TGID_Z_EN: 0
; COMPUTE_PGM_RSRC2:TIDIG_COMP_CNT: 0
; COMPUTE_PGM_RSRC3_GFX90A:ACCUM_OFFSET: 1
; COMPUTE_PGM_RSRC3_GFX90A:TG_SPLIT: 0
	.section	.text._Z4Add4IdEvPT_iS0_,"axG",@progbits,_Z4Add4IdEvPT_iS0_,comdat
	.protected	_Z4Add4IdEvPT_iS0_      ; -- Begin function _Z4Add4IdEvPT_iS0_
	.globl	_Z4Add4IdEvPT_iS0_
	.p2align	8
	.type	_Z4Add4IdEvPT_iS0_,@function
_Z4Add4IdEvPT_iS0_:                     ; @_Z4Add4IdEvPT_iS0_
; %bb.0:
	s_load_dword s6, s[0:1], 0x24
	s_load_dwordx2 s[4:5], s[0:1], 0x0
	s_load_dword s3, s[0:1], 0x8
	s_waitcnt lgkmcnt(0)
	s_and_b32 s6, s6, 0xffff
	s_mul_i32 s2, s2, s6
	v_add_u32_e32 v0, s2, v0
	v_ashrrev_i32_e32 v1, 31, v0
	v_lshl_add_u64 v[0:1], v[0:1], 3, s[4:5]
	global_load_dwordx2 v[2:3], v[0:1], off
	s_mov_b32 s4, 0
	s_mov_b32 s5, 0x40240000
	;; [unrolled: 1-line block ×4, first 2 shown]
	s_cmp_lt_i32 s3, 1
	s_waitcnt vmcnt(0)
	v_add_f64 v[6:7], -v[2:3], s[4:5]
	v_add_f64 v[4:5], -v[2:3], s[6:7]
	;; [unrolled: 1-line block ×3, first 2 shown]
	s_cbranch_scc1 .LBB18_3
; %bb.1:
	s_load_dwordx2 s[0:1], s[0:1], 0x10
.LBB18_2:                               ; =>This Inner Loop Header: Depth=1
	s_waitcnt lgkmcnt(0)
	v_add_f64 v[2:3], s[0:1], -v[2:3]
	v_add_f64 v[6:7], s[0:1], -v[6:7]
	;; [unrolled: 1-line block ×236, first 2 shown]
	s_add_i32 s3, s3, -1
	v_add_f64 v[2:3], s[0:1], -v[2:3]
	v_add_f64 v[6:7], s[0:1], -v[6:7]
	;; [unrolled: 1-line block ×3, first 2 shown]
	s_cmp_eq_u32 s3, 0
	v_add_f64 v[8:9], s[0:1], -v[8:9]
	s_cbranch_scc0 .LBB18_2
.LBB18_3:
	v_add_f64 v[2:3], v[2:3], v[6:7]
	v_add_f64 v[4:5], v[4:5], v[8:9]
	;; [unrolled: 1-line block ×3, first 2 shown]
	global_store_dwordx2 v[0:1], v[2:3], off
	s_endpgm
	.section	.rodata,"a",@progbits
	.p2align	6, 0x0
	.amdhsa_kernel _Z4Add4IdEvPT_iS0_
		.amdhsa_group_segment_fixed_size 0
		.amdhsa_private_segment_fixed_size 0
		.amdhsa_kernarg_size 280
		.amdhsa_user_sgpr_count 2
		.amdhsa_user_sgpr_dispatch_ptr 0
		.amdhsa_user_sgpr_queue_ptr 0
		.amdhsa_user_sgpr_kernarg_segment_ptr 1
		.amdhsa_user_sgpr_dispatch_id 0
		.amdhsa_user_sgpr_kernarg_preload_length 0
		.amdhsa_user_sgpr_kernarg_preload_offset 0
		.amdhsa_user_sgpr_private_segment_size 0
		.amdhsa_uses_dynamic_stack 0
		.amdhsa_enable_private_segment 0
		.amdhsa_system_sgpr_workgroup_id_x 1
		.amdhsa_system_sgpr_workgroup_id_y 0
		.amdhsa_system_sgpr_workgroup_id_z 0
		.amdhsa_system_sgpr_workgroup_info 0
		.amdhsa_system_vgpr_workitem_id 0
		.amdhsa_next_free_vgpr 10
		.amdhsa_next_free_sgpr 8
		.amdhsa_accum_offset 12
		.amdhsa_reserve_vcc 0
		.amdhsa_float_round_mode_32 0
		.amdhsa_float_round_mode_16_64 0
		.amdhsa_float_denorm_mode_32 3
		.amdhsa_float_denorm_mode_16_64 3
		.amdhsa_dx10_clamp 1
		.amdhsa_ieee_mode 1
		.amdhsa_fp16_overflow 0
		.amdhsa_tg_split 0
		.amdhsa_exception_fp_ieee_invalid_op 0
		.amdhsa_exception_fp_denorm_src 0
		.amdhsa_exception_fp_ieee_div_zero 0
		.amdhsa_exception_fp_ieee_overflow 0
		.amdhsa_exception_fp_ieee_underflow 0
		.amdhsa_exception_fp_ieee_inexact 0
		.amdhsa_exception_int_div_zero 0
	.end_amdhsa_kernel
	.section	.text._Z4Add4IdEvPT_iS0_,"axG",@progbits,_Z4Add4IdEvPT_iS0_,comdat
.Lfunc_end18:
	.size	_Z4Add4IdEvPT_iS0_, .Lfunc_end18-_Z4Add4IdEvPT_iS0_
                                        ; -- End function
	.set _Z4Add4IdEvPT_iS0_.num_vgpr, 10
	.set _Z4Add4IdEvPT_iS0_.num_agpr, 0
	.set _Z4Add4IdEvPT_iS0_.numbered_sgpr, 8
	.set _Z4Add4IdEvPT_iS0_.num_named_barrier, 0
	.set _Z4Add4IdEvPT_iS0_.private_seg_size, 0
	.set _Z4Add4IdEvPT_iS0_.uses_vcc, 0
	.set _Z4Add4IdEvPT_iS0_.uses_flat_scratch, 0
	.set _Z4Add4IdEvPT_iS0_.has_dyn_sized_stack, 0
	.set _Z4Add4IdEvPT_iS0_.has_recursion, 0
	.set _Z4Add4IdEvPT_iS0_.has_indirect_call, 0
	.section	.AMDGPU.csdata,"",@progbits
; Kernel info:
; codeLenInByte = 2104
; TotalNumSgprs: 14
; NumVgprs: 10
; NumAgprs: 0
; TotalNumVgprs: 10
; ScratchSize: 0
; MemoryBound: 0
; FloatMode: 240
; IeeeMode: 1
; LDSByteSize: 0 bytes/workgroup (compile time only)
; SGPRBlocks: 1
; VGPRBlocks: 1
; NumSGPRsForWavesPerEU: 14
; NumVGPRsForWavesPerEU: 10
; AccumOffset: 12
; Occupancy: 8
; WaveLimiterHint : 0
; COMPUTE_PGM_RSRC2:SCRATCH_EN: 0
; COMPUTE_PGM_RSRC2:USER_SGPR: 2
; COMPUTE_PGM_RSRC2:TRAP_HANDLER: 0
; COMPUTE_PGM_RSRC2:TGID_X_EN: 1
; COMPUTE_PGM_RSRC2:TGID_Y_EN: 0
; COMPUTE_PGM_RSRC2:TGID_Z_EN: 0
; COMPUTE_PGM_RSRC2:TIDIG_COMP_CNT: 0
; COMPUTE_PGM_RSRC3_GFX90A:ACCUM_OFFSET: 2
; COMPUTE_PGM_RSRC3_GFX90A:TG_SPLIT: 0
	.section	.text._Z4Add8IdEvPT_iS0_,"axG",@progbits,_Z4Add8IdEvPT_iS0_,comdat
	.protected	_Z4Add8IdEvPT_iS0_      ; -- Begin function _Z4Add8IdEvPT_iS0_
	.globl	_Z4Add8IdEvPT_iS0_
	.p2align	8
	.type	_Z4Add8IdEvPT_iS0_,@function
_Z4Add8IdEvPT_iS0_:                     ; @_Z4Add8IdEvPT_iS0_
; %bb.0:
	s_load_dword s6, s[0:1], 0x24
	s_load_dwordx2 s[4:5], s[0:1], 0x0
	s_load_dword s3, s[0:1], 0x8
	s_mov_b32 s8, 0
	s_mov_b32 s10, 0
	s_waitcnt lgkmcnt(0)
	s_and_b32 s6, s6, 0xffff
	s_mul_i32 s2, s2, s6
	v_add_u32_e32 v0, s2, v0
	v_ashrrev_i32_e32 v1, 31, v0
	v_lshl_add_u64 v[0:1], v[0:1], 3, s[4:5]
	global_load_dwordx2 v[2:3], v[0:1], off
	s_mov_b32 s4, 0
	s_mov_b32 s5, 0x40240000
	;; [unrolled: 1-line block ×6, first 2 shown]
	s_cmp_lt_i32 s3, 1
	s_waitcnt vmcnt(0)
	v_add_f64 v[10:11], -v[2:3], s[4:5]
	v_add_f64 v[8:9], -v[2:3], s[6:7]
	;; [unrolled: 1-line block ×7, first 2 shown]
	s_cbranch_scc1 .LBB19_3
; %bb.1:
	s_load_dwordx2 s[0:1], s[0:1], 0x10
.LBB19_2:                               ; =>This Inner Loop Header: Depth=1
	s_waitcnt lgkmcnt(0)
	v_add_f64 v[2:3], s[0:1], -v[2:3]
	v_add_f64 v[10:11], s[0:1], -v[10:11]
	;; [unrolled: 1-line block ×232, first 2 shown]
	s_add_i32 s3, s3, -1
	v_add_f64 v[2:3], s[0:1], -v[2:3]
	v_add_f64 v[10:11], s[0:1], -v[10:11]
	;; [unrolled: 1-line block ×7, first 2 shown]
	s_cmp_eq_u32 s3, 0
	v_add_f64 v[16:17], s[0:1], -v[16:17]
	s_cbranch_scc0 .LBB19_2
.LBB19_3:
	v_add_f64 v[2:3], v[2:3], v[10:11]
	v_add_f64 v[8:9], v[8:9], v[14:15]
	;; [unrolled: 1-line block ×7, first 2 shown]
	global_store_dwordx2 v[0:1], v[2:3], off
	s_endpgm
	.section	.rodata,"a",@progbits
	.p2align	6, 0x0
	.amdhsa_kernel _Z4Add8IdEvPT_iS0_
		.amdhsa_group_segment_fixed_size 0
		.amdhsa_private_segment_fixed_size 0
		.amdhsa_kernarg_size 280
		.amdhsa_user_sgpr_count 2
		.amdhsa_user_sgpr_dispatch_ptr 0
		.amdhsa_user_sgpr_queue_ptr 0
		.amdhsa_user_sgpr_kernarg_segment_ptr 1
		.amdhsa_user_sgpr_dispatch_id 0
		.amdhsa_user_sgpr_kernarg_preload_length 0
		.amdhsa_user_sgpr_kernarg_preload_offset 0
		.amdhsa_user_sgpr_private_segment_size 0
		.amdhsa_uses_dynamic_stack 0
		.amdhsa_enable_private_segment 0
		.amdhsa_system_sgpr_workgroup_id_x 1
		.amdhsa_system_sgpr_workgroup_id_y 0
		.amdhsa_system_sgpr_workgroup_id_z 0
		.amdhsa_system_sgpr_workgroup_info 0
		.amdhsa_system_vgpr_workitem_id 0
		.amdhsa_next_free_vgpr 18
		.amdhsa_next_free_sgpr 12
		.amdhsa_accum_offset 20
		.amdhsa_reserve_vcc 0
		.amdhsa_float_round_mode_32 0
		.amdhsa_float_round_mode_16_64 0
		.amdhsa_float_denorm_mode_32 3
		.amdhsa_float_denorm_mode_16_64 3
		.amdhsa_dx10_clamp 1
		.amdhsa_ieee_mode 1
		.amdhsa_fp16_overflow 0
		.amdhsa_tg_split 0
		.amdhsa_exception_fp_ieee_invalid_op 0
		.amdhsa_exception_fp_denorm_src 0
		.amdhsa_exception_fp_ieee_div_zero 0
		.amdhsa_exception_fp_ieee_overflow 0
		.amdhsa_exception_fp_ieee_underflow 0
		.amdhsa_exception_fp_ieee_inexact 0
		.amdhsa_exception_int_div_zero 0
	.end_amdhsa_kernel
	.section	.text._Z4Add8IdEvPT_iS0_,"axG",@progbits,_Z4Add8IdEvPT_iS0_,comdat
.Lfunc_end19:
	.size	_Z4Add8IdEvPT_iS0_, .Lfunc_end19-_Z4Add8IdEvPT_iS0_
                                        ; -- End function
	.set _Z4Add8IdEvPT_iS0_.num_vgpr, 18
	.set _Z4Add8IdEvPT_iS0_.num_agpr, 0
	.set _Z4Add8IdEvPT_iS0_.numbered_sgpr, 12
	.set _Z4Add8IdEvPT_iS0_.num_named_barrier, 0
	.set _Z4Add8IdEvPT_iS0_.private_seg_size, 0
	.set _Z4Add8IdEvPT_iS0_.uses_vcc, 0
	.set _Z4Add8IdEvPT_iS0_.uses_flat_scratch, 0
	.set _Z4Add8IdEvPT_iS0_.has_dyn_sized_stack, 0
	.set _Z4Add8IdEvPT_iS0_.has_recursion, 0
	.set _Z4Add8IdEvPT_iS0_.has_indirect_call, 0
	.section	.AMDGPU.csdata,"",@progbits
; Kernel info:
; codeLenInByte = 2192
; TotalNumSgprs: 18
; NumVgprs: 18
; NumAgprs: 0
; TotalNumVgprs: 18
; ScratchSize: 0
; MemoryBound: 0
; FloatMode: 240
; IeeeMode: 1
; LDSByteSize: 0 bytes/workgroup (compile time only)
; SGPRBlocks: 2
; VGPRBlocks: 2
; NumSGPRsForWavesPerEU: 18
; NumVGPRsForWavesPerEU: 18
; AccumOffset: 20
; Occupancy: 8
; WaveLimiterHint : 0
; COMPUTE_PGM_RSRC2:SCRATCH_EN: 0
; COMPUTE_PGM_RSRC2:USER_SGPR: 2
; COMPUTE_PGM_RSRC2:TRAP_HANDLER: 0
; COMPUTE_PGM_RSRC2:TGID_X_EN: 1
; COMPUTE_PGM_RSRC2:TGID_Y_EN: 0
; COMPUTE_PGM_RSRC2:TGID_Z_EN: 0
; COMPUTE_PGM_RSRC2:TIDIG_COMP_CNT: 0
; COMPUTE_PGM_RSRC3_GFX90A:ACCUM_OFFSET: 4
; COMPUTE_PGM_RSRC3_GFX90A:TG_SPLIT: 0
	.section	.text._Z4Mul1IdEvPT_iS0_,"axG",@progbits,_Z4Mul1IdEvPT_iS0_,comdat
	.protected	_Z4Mul1IdEvPT_iS0_      ; -- Begin function _Z4Mul1IdEvPT_iS0_
	.globl	_Z4Mul1IdEvPT_iS0_
	.p2align	8
	.type	_Z4Mul1IdEvPT_iS0_,@function
_Z4Mul1IdEvPT_iS0_:                     ; @_Z4Mul1IdEvPT_iS0_
; %bb.0:
	s_load_dword s6, s[0:1], 0x24
	s_load_dwordx2 s[4:5], s[0:1], 0x0
	s_load_dword s3, s[0:1], 0x8
	s_waitcnt lgkmcnt(0)
	s_and_b32 s6, s6, 0xffff
	s_mul_i32 s2, s2, s6
	v_add_u32_e32 v0, s2, v0
	v_ashrrev_i32_e32 v1, 31, v0
	v_lshl_add_u64 v[0:1], v[0:1], 3, s[4:5]
	global_load_dwordx2 v[2:3], v[0:1], off
	s_brev_b32 s4, 7
	s_mov_b32 s5, 0x3feff7ce
	s_cmp_lt_i32 s3, 1
	s_waitcnt vmcnt(0)
	v_add_f64 v[2:3], v[2:3], -v[2:3]
	v_add_f64 v[2:3], v[2:3], s[4:5]
	s_cbranch_scc1 .LBB20_3
; %bb.1:
	s_load_dwordx2 s[0:1], s[0:1], 0x10
.LBB20_2:                               ; =>This Inner Loop Header: Depth=1
	v_mul_f64 v[2:3], v[2:3], v[2:3]
	s_waitcnt lgkmcnt(0)
	v_mul_f64 v[2:3], s[0:1], v[2:3]
	v_mul_f64 v[2:3], v[2:3], v[2:3]
	;; [unrolled: 1-line block ×398, first 2 shown]
	s_add_i32 s3, s3, -1
	s_cmp_eq_u32 s3, 0
	v_mul_f64 v[2:3], s[0:1], v[2:3]
	s_cbranch_scc0 .LBB20_2
.LBB20_3:
	global_store_dwordx2 v[0:1], v[2:3], off
	s_endpgm
	.section	.rodata,"a",@progbits
	.p2align	6, 0x0
	.amdhsa_kernel _Z4Mul1IdEvPT_iS0_
		.amdhsa_group_segment_fixed_size 0
		.amdhsa_private_segment_fixed_size 0
		.amdhsa_kernarg_size 280
		.amdhsa_user_sgpr_count 2
		.amdhsa_user_sgpr_dispatch_ptr 0
		.amdhsa_user_sgpr_queue_ptr 0
		.amdhsa_user_sgpr_kernarg_segment_ptr 1
		.amdhsa_user_sgpr_dispatch_id 0
		.amdhsa_user_sgpr_kernarg_preload_length 0
		.amdhsa_user_sgpr_kernarg_preload_offset 0
		.amdhsa_user_sgpr_private_segment_size 0
		.amdhsa_uses_dynamic_stack 0
		.amdhsa_enable_private_segment 0
		.amdhsa_system_sgpr_workgroup_id_x 1
		.amdhsa_system_sgpr_workgroup_id_y 0
		.amdhsa_system_sgpr_workgroup_id_z 0
		.amdhsa_system_sgpr_workgroup_info 0
		.amdhsa_system_vgpr_workitem_id 0
		.amdhsa_next_free_vgpr 4
		.amdhsa_next_free_sgpr 7
		.amdhsa_accum_offset 4
		.amdhsa_reserve_vcc 0
		.amdhsa_float_round_mode_32 0
		.amdhsa_float_round_mode_16_64 0
		.amdhsa_float_denorm_mode_32 3
		.amdhsa_float_denorm_mode_16_64 3
		.amdhsa_dx10_clamp 1
		.amdhsa_ieee_mode 1
		.amdhsa_fp16_overflow 0
		.amdhsa_tg_split 0
		.amdhsa_exception_fp_ieee_invalid_op 0
		.amdhsa_exception_fp_denorm_src 0
		.amdhsa_exception_fp_ieee_div_zero 0
		.amdhsa_exception_fp_ieee_overflow 0
		.amdhsa_exception_fp_ieee_underflow 0
		.amdhsa_exception_fp_ieee_inexact 0
		.amdhsa_exception_int_div_zero 0
	.end_amdhsa_kernel
	.section	.text._Z4Mul1IdEvPT_iS0_,"axG",@progbits,_Z4Mul1IdEvPT_iS0_,comdat
.Lfunc_end20:
	.size	_Z4Mul1IdEvPT_iS0_, .Lfunc_end20-_Z4Mul1IdEvPT_iS0_
                                        ; -- End function
	.set _Z4Mul1IdEvPT_iS0_.num_vgpr, 4
	.set _Z4Mul1IdEvPT_iS0_.num_agpr, 0
	.set _Z4Mul1IdEvPT_iS0_.numbered_sgpr, 7
	.set _Z4Mul1IdEvPT_iS0_.num_named_barrier, 0
	.set _Z4Mul1IdEvPT_iS0_.private_seg_size, 0
	.set _Z4Mul1IdEvPT_iS0_.uses_vcc, 0
	.set _Z4Mul1IdEvPT_iS0_.uses_flat_scratch, 0
	.set _Z4Mul1IdEvPT_iS0_.has_dyn_sized_stack, 0
	.set _Z4Mul1IdEvPT_iS0_.has_recursion, 0
	.set _Z4Mul1IdEvPT_iS0_.has_indirect_call, 0
	.section	.AMDGPU.csdata,"",@progbits
; Kernel info:
; codeLenInByte = 3340
; TotalNumSgprs: 13
; NumVgprs: 4
; NumAgprs: 0
; TotalNumVgprs: 4
; ScratchSize: 0
; MemoryBound: 0
; FloatMode: 240
; IeeeMode: 1
; LDSByteSize: 0 bytes/workgroup (compile time only)
; SGPRBlocks: 1
; VGPRBlocks: 0
; NumSGPRsForWavesPerEU: 13
; NumVGPRsForWavesPerEU: 4
; AccumOffset: 4
; Occupancy: 8
; WaveLimiterHint : 0
; COMPUTE_PGM_RSRC2:SCRATCH_EN: 0
; COMPUTE_PGM_RSRC2:USER_SGPR: 2
; COMPUTE_PGM_RSRC2:TRAP_HANDLER: 0
; COMPUTE_PGM_RSRC2:TGID_X_EN: 1
; COMPUTE_PGM_RSRC2:TGID_Y_EN: 0
; COMPUTE_PGM_RSRC2:TGID_Z_EN: 0
; COMPUTE_PGM_RSRC2:TIDIG_COMP_CNT: 0
; COMPUTE_PGM_RSRC3_GFX90A:ACCUM_OFFSET: 0
; COMPUTE_PGM_RSRC3_GFX90A:TG_SPLIT: 0
	.section	.text._Z4Mul2IdEvPT_iS0_,"axG",@progbits,_Z4Mul2IdEvPT_iS0_,comdat
	.protected	_Z4Mul2IdEvPT_iS0_      ; -- Begin function _Z4Mul2IdEvPT_iS0_
	.globl	_Z4Mul2IdEvPT_iS0_
	.p2align	8
	.type	_Z4Mul2IdEvPT_iS0_,@function
_Z4Mul2IdEvPT_iS0_:                     ; @_Z4Mul2IdEvPT_iS0_
; %bb.0:
	s_load_dword s6, s[0:1], 0x24
	s_load_dwordx2 s[4:5], s[0:1], 0x0
	s_load_dword s3, s[0:1], 0x8
	s_waitcnt lgkmcnt(0)
	s_and_b32 s6, s6, 0xffff
	s_mul_i32 s2, s2, s6
	v_add_u32_e32 v0, s2, v0
	v_ashrrev_i32_e32 v1, 31, v0
	v_lshl_add_u64 v[0:1], v[0:1], 3, s[4:5]
	global_load_dwordx2 v[2:3], v[0:1], off
	s_mov_b32 s5, 0x3feff7ce
	s_brev_b32 s4, 7
	s_cmp_lt_i32 s3, 1
	s_waitcnt vmcnt(0)
	v_add_f64 v[2:3], v[2:3], -v[2:3]
	v_add_f64 v[2:3], v[2:3], s[4:5]
	s_mov_b32 s5, 0xbf1a36e2
	v_add_f64 v[4:5], v[2:3], s[4:5]
	s_cbranch_scc1 .LBB21_3
; %bb.1:
	s_load_dwordx2 s[0:1], s[0:1], 0x10
.LBB21_2:                               ; =>This Inner Loop Header: Depth=1
	v_mul_f64 v[2:3], v[2:3], v[2:3]
	v_mul_f64 v[4:5], v[4:5], v[4:5]
	s_waitcnt lgkmcnt(0)
	v_mul_f64 v[2:3], s[0:1], v[2:3]
	v_mul_f64 v[4:5], s[0:1], v[4:5]
	;; [unrolled: 1-line block ×396, first 2 shown]
	s_add_i32 s3, s3, -1
	v_mul_f64 v[2:3], s[0:1], v[2:3]
	s_cmp_eq_u32 s3, 0
	v_mul_f64 v[4:5], s[0:1], v[4:5]
	s_cbranch_scc0 .LBB21_2
.LBB21_3:
	v_add_f64 v[2:3], v[2:3], v[4:5]
	global_store_dwordx2 v[0:1], v[2:3], off
	s_endpgm
	.section	.rodata,"a",@progbits
	.p2align	6, 0x0
	.amdhsa_kernel _Z4Mul2IdEvPT_iS0_
		.amdhsa_group_segment_fixed_size 0
		.amdhsa_private_segment_fixed_size 0
		.amdhsa_kernarg_size 280
		.amdhsa_user_sgpr_count 2
		.amdhsa_user_sgpr_dispatch_ptr 0
		.amdhsa_user_sgpr_queue_ptr 0
		.amdhsa_user_sgpr_kernarg_segment_ptr 1
		.amdhsa_user_sgpr_dispatch_id 0
		.amdhsa_user_sgpr_kernarg_preload_length 0
		.amdhsa_user_sgpr_kernarg_preload_offset 0
		.amdhsa_user_sgpr_private_segment_size 0
		.amdhsa_uses_dynamic_stack 0
		.amdhsa_enable_private_segment 0
		.amdhsa_system_sgpr_workgroup_id_x 1
		.amdhsa_system_sgpr_workgroup_id_y 0
		.amdhsa_system_sgpr_workgroup_id_z 0
		.amdhsa_system_sgpr_workgroup_info 0
		.amdhsa_system_vgpr_workitem_id 0
		.amdhsa_next_free_vgpr 6
		.amdhsa_next_free_sgpr 7
		.amdhsa_accum_offset 8
		.amdhsa_reserve_vcc 0
		.amdhsa_float_round_mode_32 0
		.amdhsa_float_round_mode_16_64 0
		.amdhsa_float_denorm_mode_32 3
		.amdhsa_float_denorm_mode_16_64 3
		.amdhsa_dx10_clamp 1
		.amdhsa_ieee_mode 1
		.amdhsa_fp16_overflow 0
		.amdhsa_tg_split 0
		.amdhsa_exception_fp_ieee_invalid_op 0
		.amdhsa_exception_fp_denorm_src 0
		.amdhsa_exception_fp_ieee_div_zero 0
		.amdhsa_exception_fp_ieee_overflow 0
		.amdhsa_exception_fp_ieee_underflow 0
		.amdhsa_exception_fp_ieee_inexact 0
		.amdhsa_exception_int_div_zero 0
	.end_amdhsa_kernel
	.section	.text._Z4Mul2IdEvPT_iS0_,"axG",@progbits,_Z4Mul2IdEvPT_iS0_,comdat
.Lfunc_end21:
	.size	_Z4Mul2IdEvPT_iS0_, .Lfunc_end21-_Z4Mul2IdEvPT_iS0_
                                        ; -- End function
	.set _Z4Mul2IdEvPT_iS0_.num_vgpr, 6
	.set _Z4Mul2IdEvPT_iS0_.num_agpr, 0
	.set _Z4Mul2IdEvPT_iS0_.numbered_sgpr, 7
	.set _Z4Mul2IdEvPT_iS0_.num_named_barrier, 0
	.set _Z4Mul2IdEvPT_iS0_.private_seg_size, 0
	.set _Z4Mul2IdEvPT_iS0_.uses_vcc, 0
	.set _Z4Mul2IdEvPT_iS0_.uses_flat_scratch, 0
	.set _Z4Mul2IdEvPT_iS0_.has_dyn_sized_stack, 0
	.set _Z4Mul2IdEvPT_iS0_.has_recursion, 0
	.set _Z4Mul2IdEvPT_iS0_.has_indirect_call, 0
	.section	.AMDGPU.csdata,"",@progbits
; Kernel info:
; codeLenInByte = 3364
; TotalNumSgprs: 13
; NumVgprs: 6
; NumAgprs: 0
; TotalNumVgprs: 6
; ScratchSize: 0
; MemoryBound: 0
; FloatMode: 240
; IeeeMode: 1
; LDSByteSize: 0 bytes/workgroup (compile time only)
; SGPRBlocks: 1
; VGPRBlocks: 0
; NumSGPRsForWavesPerEU: 13
; NumVGPRsForWavesPerEU: 6
; AccumOffset: 8
; Occupancy: 8
; WaveLimiterHint : 0
; COMPUTE_PGM_RSRC2:SCRATCH_EN: 0
; COMPUTE_PGM_RSRC2:USER_SGPR: 2
; COMPUTE_PGM_RSRC2:TRAP_HANDLER: 0
; COMPUTE_PGM_RSRC2:TGID_X_EN: 1
; COMPUTE_PGM_RSRC2:TGID_Y_EN: 0
; COMPUTE_PGM_RSRC2:TGID_Z_EN: 0
; COMPUTE_PGM_RSRC2:TIDIG_COMP_CNT: 0
; COMPUTE_PGM_RSRC3_GFX90A:ACCUM_OFFSET: 1
; COMPUTE_PGM_RSRC3_GFX90A:TG_SPLIT: 0
	.section	.text._Z4Mul4IdEvPT_iS0_,"axG",@progbits,_Z4Mul4IdEvPT_iS0_,comdat
	.protected	_Z4Mul4IdEvPT_iS0_      ; -- Begin function _Z4Mul4IdEvPT_iS0_
	.globl	_Z4Mul4IdEvPT_iS0_
	.p2align	8
	.type	_Z4Mul4IdEvPT_iS0_,@function
_Z4Mul4IdEvPT_iS0_:                     ; @_Z4Mul4IdEvPT_iS0_
; %bb.0:
	s_load_dword s6, s[0:1], 0x24
	s_load_dwordx2 s[4:5], s[0:1], 0x0
	s_load_dword s3, s[0:1], 0x8
	s_waitcnt lgkmcnt(0)
	s_and_b32 s6, s6, 0xffff
	s_mul_i32 s2, s2, s6
	v_add_u32_e32 v0, s2, v0
	v_ashrrev_i32_e32 v1, 31, v0
	v_lshl_add_u64 v[0:1], v[0:1], 3, s[4:5]
	global_load_dwordx2 v[2:3], v[0:1], off
	s_mov_b32 s5, 0x3feff7ce
	s_brev_b32 s4, 7
	s_mov_b32 s6, 2.0
	s_mov_b32 s7, 0xbf33a92a
	s_cmp_lt_i32 s3, 1
	s_waitcnt vmcnt(0)
	v_add_f64 v[2:3], v[2:3], -v[2:3]
	v_add_f64 v[2:3], v[2:3], s[4:5]
	s_mov_b32 s5, 0xbf1a36e2
	v_add_f64 v[4:5], v[2:3], s[4:5]
	s_mov_b32 s5, 0xbf2a36e2
	v_add_f64 v[6:7], v[2:3], s[4:5]
	v_add_f64 v[8:9], v[2:3], s[6:7]
	s_cbranch_scc1 .LBB22_3
; %bb.1:
	s_load_dwordx2 s[0:1], s[0:1], 0x10
.LBB22_2:                               ; =>This Inner Loop Header: Depth=1
	v_mul_f64 v[2:3], v[2:3], v[2:3]
	v_mul_f64 v[4:5], v[4:5], v[4:5]
	;; [unrolled: 1-line block ×4, first 2 shown]
	s_waitcnt lgkmcnt(0)
	v_mul_f64 v[2:3], s[0:1], v[2:3]
	v_mul_f64 v[4:5], s[0:1], v[4:5]
	;; [unrolled: 1-line block ×392, first 2 shown]
	s_add_i32 s3, s3, -1
	v_mul_f64 v[2:3], s[0:1], v[2:3]
	v_mul_f64 v[4:5], s[0:1], v[4:5]
	;; [unrolled: 1-line block ×3, first 2 shown]
	s_cmp_eq_u32 s3, 0
	v_mul_f64 v[8:9], s[0:1], v[8:9]
	s_cbranch_scc0 .LBB22_2
.LBB22_3:
	v_add_f64 v[2:3], v[2:3], v[4:5]
	v_add_f64 v[4:5], v[6:7], v[8:9]
	;; [unrolled: 1-line block ×3, first 2 shown]
	global_store_dwordx2 v[0:1], v[2:3], off
	s_endpgm
	.section	.rodata,"a",@progbits
	.p2align	6, 0x0
	.amdhsa_kernel _Z4Mul4IdEvPT_iS0_
		.amdhsa_group_segment_fixed_size 0
		.amdhsa_private_segment_fixed_size 0
		.amdhsa_kernarg_size 280
		.amdhsa_user_sgpr_count 2
		.amdhsa_user_sgpr_dispatch_ptr 0
		.amdhsa_user_sgpr_queue_ptr 0
		.amdhsa_user_sgpr_kernarg_segment_ptr 1
		.amdhsa_user_sgpr_dispatch_id 0
		.amdhsa_user_sgpr_kernarg_preload_length 0
		.amdhsa_user_sgpr_kernarg_preload_offset 0
		.amdhsa_user_sgpr_private_segment_size 0
		.amdhsa_uses_dynamic_stack 0
		.amdhsa_enable_private_segment 0
		.amdhsa_system_sgpr_workgroup_id_x 1
		.amdhsa_system_sgpr_workgroup_id_y 0
		.amdhsa_system_sgpr_workgroup_id_z 0
		.amdhsa_system_sgpr_workgroup_info 0
		.amdhsa_system_vgpr_workitem_id 0
		.amdhsa_next_free_vgpr 10
		.amdhsa_next_free_sgpr 8
		.amdhsa_accum_offset 12
		.amdhsa_reserve_vcc 0
		.amdhsa_float_round_mode_32 0
		.amdhsa_float_round_mode_16_64 0
		.amdhsa_float_denorm_mode_32 3
		.amdhsa_float_denorm_mode_16_64 3
		.amdhsa_dx10_clamp 1
		.amdhsa_ieee_mode 1
		.amdhsa_fp16_overflow 0
		.amdhsa_tg_split 0
		.amdhsa_exception_fp_ieee_invalid_op 0
		.amdhsa_exception_fp_denorm_src 0
		.amdhsa_exception_fp_ieee_div_zero 0
		.amdhsa_exception_fp_ieee_overflow 0
		.amdhsa_exception_fp_ieee_underflow 0
		.amdhsa_exception_fp_ieee_inexact 0
		.amdhsa_exception_int_div_zero 0
	.end_amdhsa_kernel
	.section	.text._Z4Mul4IdEvPT_iS0_,"axG",@progbits,_Z4Mul4IdEvPT_iS0_,comdat
.Lfunc_end22:
	.size	_Z4Mul4IdEvPT_iS0_, .Lfunc_end22-_Z4Mul4IdEvPT_iS0_
                                        ; -- End function
	.set _Z4Mul4IdEvPT_iS0_.num_vgpr, 10
	.set _Z4Mul4IdEvPT_iS0_.num_agpr, 0
	.set _Z4Mul4IdEvPT_iS0_.numbered_sgpr, 8
	.set _Z4Mul4IdEvPT_iS0_.num_named_barrier, 0
	.set _Z4Mul4IdEvPT_iS0_.private_seg_size, 0
	.set _Z4Mul4IdEvPT_iS0_.uses_vcc, 0
	.set _Z4Mul4IdEvPT_iS0_.uses_flat_scratch, 0
	.set _Z4Mul4IdEvPT_iS0_.has_dyn_sized_stack, 0
	.set _Z4Mul4IdEvPT_iS0_.has_recursion, 0
	.set _Z4Mul4IdEvPT_iS0_.has_indirect_call, 0
	.section	.AMDGPU.csdata,"",@progbits
; Kernel info:
; codeLenInByte = 3416
; TotalNumSgprs: 14
; NumVgprs: 10
; NumAgprs: 0
; TotalNumVgprs: 10
; ScratchSize: 0
; MemoryBound: 0
; FloatMode: 240
; IeeeMode: 1
; LDSByteSize: 0 bytes/workgroup (compile time only)
; SGPRBlocks: 1
; VGPRBlocks: 1
; NumSGPRsForWavesPerEU: 14
; NumVGPRsForWavesPerEU: 10
; AccumOffset: 12
; Occupancy: 8
; WaveLimiterHint : 0
; COMPUTE_PGM_RSRC2:SCRATCH_EN: 0
; COMPUTE_PGM_RSRC2:USER_SGPR: 2
; COMPUTE_PGM_RSRC2:TRAP_HANDLER: 0
; COMPUTE_PGM_RSRC2:TGID_X_EN: 1
; COMPUTE_PGM_RSRC2:TGID_Y_EN: 0
; COMPUTE_PGM_RSRC2:TGID_Z_EN: 0
; COMPUTE_PGM_RSRC2:TIDIG_COMP_CNT: 0
; COMPUTE_PGM_RSRC3_GFX90A:ACCUM_OFFSET: 2
; COMPUTE_PGM_RSRC3_GFX90A:TG_SPLIT: 0
	.section	.text._Z4Mul8IdEvPT_iS0_,"axG",@progbits,_Z4Mul8IdEvPT_iS0_,comdat
	.protected	_Z4Mul8IdEvPT_iS0_      ; -- Begin function _Z4Mul8IdEvPT_iS0_
	.globl	_Z4Mul8IdEvPT_iS0_
	.p2align	8
	.type	_Z4Mul8IdEvPT_iS0_,@function
_Z4Mul8IdEvPT_iS0_:                     ; @_Z4Mul8IdEvPT_iS0_
; %bb.0:
	s_load_dword s6, s[0:1], 0x24
	s_load_dwordx2 s[4:5], s[0:1], 0x0
	s_load_dword s3, s[0:1], 0x8
	s_mov_b32 s7, 0xbf33a92a
	s_brev_b32 s8, 1
	s_waitcnt lgkmcnt(0)
	s_and_b32 s6, s6, 0xffff
	s_mul_i32 s2, s2, s6
	v_add_u32_e32 v0, s2, v0
	v_ashrrev_i32_e32 v1, 31, v0
	v_lshl_add_u64 v[0:1], v[0:1], 3, s[4:5]
	global_load_dwordx2 v[2:3], v[0:1], off
	s_mov_b32 s5, 0x3feff7ce
	s_brev_b32 s4, 7
	s_mov_b32 s6, 2.0
	s_mov_b32 s9, 0xbf46f006
	s_cmp_lt_i32 s3, 1
	s_waitcnt vmcnt(0)
	v_add_f64 v[2:3], v[2:3], -v[2:3]
	v_add_f64 v[2:3], v[2:3], s[4:5]
	s_mov_b32 s5, 0xbf1a36e2
	v_add_f64 v[4:5], v[2:3], s[4:5]
	s_mov_b32 s5, 0xbf2a36e2
	;; [unrolled: 2-line block ×5, first 2 shown]
	v_add_f64 v[8:9], v[2:3], s[6:7]
	v_add_f64 v[14:15], v[2:3], s[4:5]
	v_add_f64 v[16:17], v[2:3], s[8:9]
	s_cbranch_scc1 .LBB23_3
; %bb.1:
	s_load_dwordx2 s[0:1], s[0:1], 0x10
.LBB23_2:                               ; =>This Inner Loop Header: Depth=1
	v_mul_f64 v[2:3], v[2:3], v[2:3]
	v_mul_f64 v[4:5], v[4:5], v[4:5]
	;; [unrolled: 1-line block ×8, first 2 shown]
	s_waitcnt lgkmcnt(0)
	v_mul_f64 v[2:3], s[0:1], v[2:3]
	v_mul_f64 v[4:5], s[0:1], v[4:5]
	v_mul_f64 v[10:11], s[0:1], v[10:11]
	v_mul_f64 v[6:7], s[0:1], v[6:7]
	v_mul_f64 v[12:13], s[0:1], v[12:13]
	v_mul_f64 v[14:15], s[0:1], v[14:15]
	v_mul_f64 v[8:9], s[0:1], v[8:9]
	v_mul_f64 v[16:17], s[0:1], v[16:17]
	v_mul_f64 v[2:3], v[2:3], v[2:3]
	v_mul_f64 v[4:5], v[4:5], v[4:5]
	v_mul_f64 v[10:11], v[10:11], v[10:11]
	v_mul_f64 v[6:7], v[6:7], v[6:7]
	v_mul_f64 v[12:13], v[12:13], v[12:13]
	v_mul_f64 v[14:15], v[14:15], v[14:15]
	v_mul_f64 v[8:9], v[8:9], v[8:9]
	v_mul_f64 v[16:17], v[16:17], v[16:17]
	v_mul_f64 v[2:3], s[0:1], v[2:3]
	v_mul_f64 v[4:5], s[0:1], v[4:5]
	v_mul_f64 v[10:11], s[0:1], v[10:11]
	v_mul_f64 v[6:7], s[0:1], v[6:7]
	v_mul_f64 v[12:13], s[0:1], v[12:13]
	v_mul_f64 v[14:15], s[0:1], v[14:15]
	v_mul_f64 v[8:9], s[0:1], v[8:9]
	v_mul_f64 v[16:17], s[0:1], v[16:17]
	v_mul_f64 v[2:3], v[2:3], v[2:3]
	v_mul_f64 v[4:5], v[4:5], v[4:5]
	v_mul_f64 v[10:11], v[10:11], v[10:11]
	v_mul_f64 v[6:7], v[6:7], v[6:7]
	v_mul_f64 v[12:13], v[12:13], v[12:13]
	v_mul_f64 v[14:15], v[14:15], v[14:15]
	v_mul_f64 v[8:9], v[8:9], v[8:9]
	v_mul_f64 v[16:17], v[16:17], v[16:17]
	v_mul_f64 v[2:3], s[0:1], v[2:3]
	v_mul_f64 v[4:5], s[0:1], v[4:5]
	v_mul_f64 v[10:11], s[0:1], v[10:11]
	v_mul_f64 v[6:7], s[0:1], v[6:7]
	v_mul_f64 v[12:13], s[0:1], v[12:13]
	v_mul_f64 v[14:15], s[0:1], v[14:15]
	v_mul_f64 v[8:9], s[0:1], v[8:9]
	v_mul_f64 v[16:17], s[0:1], v[16:17]
	v_mul_f64 v[2:3], v[2:3], v[2:3]
	v_mul_f64 v[4:5], v[4:5], v[4:5]
	v_mul_f64 v[10:11], v[10:11], v[10:11]
	v_mul_f64 v[6:7], v[6:7], v[6:7]
	v_mul_f64 v[12:13], v[12:13], v[12:13]
	v_mul_f64 v[14:15], v[14:15], v[14:15]
	v_mul_f64 v[8:9], v[8:9], v[8:9]
	v_mul_f64 v[16:17], v[16:17], v[16:17]
	v_mul_f64 v[2:3], s[0:1], v[2:3]
	v_mul_f64 v[4:5], s[0:1], v[4:5]
	v_mul_f64 v[10:11], s[0:1], v[10:11]
	v_mul_f64 v[6:7], s[0:1], v[6:7]
	v_mul_f64 v[12:13], s[0:1], v[12:13]
	v_mul_f64 v[14:15], s[0:1], v[14:15]
	v_mul_f64 v[8:9], s[0:1], v[8:9]
	v_mul_f64 v[16:17], s[0:1], v[16:17]
	v_mul_f64 v[2:3], v[2:3], v[2:3]
	v_mul_f64 v[4:5], v[4:5], v[4:5]
	v_mul_f64 v[10:11], v[10:11], v[10:11]
	v_mul_f64 v[6:7], v[6:7], v[6:7]
	v_mul_f64 v[12:13], v[12:13], v[12:13]
	v_mul_f64 v[14:15], v[14:15], v[14:15]
	v_mul_f64 v[8:9], v[8:9], v[8:9]
	v_mul_f64 v[16:17], v[16:17], v[16:17]
	v_mul_f64 v[2:3], s[0:1], v[2:3]
	v_mul_f64 v[4:5], s[0:1], v[4:5]
	v_mul_f64 v[10:11], s[0:1], v[10:11]
	v_mul_f64 v[6:7], s[0:1], v[6:7]
	v_mul_f64 v[12:13], s[0:1], v[12:13]
	v_mul_f64 v[14:15], s[0:1], v[14:15]
	v_mul_f64 v[8:9], s[0:1], v[8:9]
	v_mul_f64 v[16:17], s[0:1], v[16:17]
	v_mul_f64 v[2:3], v[2:3], v[2:3]
	v_mul_f64 v[4:5], v[4:5], v[4:5]
	v_mul_f64 v[10:11], v[10:11], v[10:11]
	v_mul_f64 v[6:7], v[6:7], v[6:7]
	v_mul_f64 v[12:13], v[12:13], v[12:13]
	v_mul_f64 v[14:15], v[14:15], v[14:15]
	v_mul_f64 v[8:9], v[8:9], v[8:9]
	v_mul_f64 v[16:17], v[16:17], v[16:17]
	v_mul_f64 v[2:3], s[0:1], v[2:3]
	v_mul_f64 v[4:5], s[0:1], v[4:5]
	v_mul_f64 v[10:11], s[0:1], v[10:11]
	v_mul_f64 v[6:7], s[0:1], v[6:7]
	v_mul_f64 v[12:13], s[0:1], v[12:13]
	v_mul_f64 v[14:15], s[0:1], v[14:15]
	v_mul_f64 v[8:9], s[0:1], v[8:9]
	v_mul_f64 v[16:17], s[0:1], v[16:17]
	v_mul_f64 v[2:3], v[2:3], v[2:3]
	v_mul_f64 v[4:5], v[4:5], v[4:5]
	v_mul_f64 v[10:11], v[10:11], v[10:11]
	v_mul_f64 v[6:7], v[6:7], v[6:7]
	v_mul_f64 v[12:13], v[12:13], v[12:13]
	v_mul_f64 v[14:15], v[14:15], v[14:15]
	v_mul_f64 v[8:9], v[8:9], v[8:9]
	v_mul_f64 v[16:17], v[16:17], v[16:17]
	v_mul_f64 v[2:3], s[0:1], v[2:3]
	v_mul_f64 v[4:5], s[0:1], v[4:5]
	v_mul_f64 v[10:11], s[0:1], v[10:11]
	v_mul_f64 v[6:7], s[0:1], v[6:7]
	v_mul_f64 v[12:13], s[0:1], v[12:13]
	v_mul_f64 v[14:15], s[0:1], v[14:15]
	v_mul_f64 v[8:9], s[0:1], v[8:9]
	v_mul_f64 v[16:17], s[0:1], v[16:17]
	v_mul_f64 v[2:3], v[2:3], v[2:3]
	v_mul_f64 v[4:5], v[4:5], v[4:5]
	v_mul_f64 v[10:11], v[10:11], v[10:11]
	v_mul_f64 v[6:7], v[6:7], v[6:7]
	v_mul_f64 v[12:13], v[12:13], v[12:13]
	v_mul_f64 v[14:15], v[14:15], v[14:15]
	v_mul_f64 v[8:9], v[8:9], v[8:9]
	v_mul_f64 v[16:17], v[16:17], v[16:17]
	v_mul_f64 v[2:3], s[0:1], v[2:3]
	v_mul_f64 v[4:5], s[0:1], v[4:5]
	v_mul_f64 v[10:11], s[0:1], v[10:11]
	v_mul_f64 v[6:7], s[0:1], v[6:7]
	v_mul_f64 v[12:13], s[0:1], v[12:13]
	v_mul_f64 v[14:15], s[0:1], v[14:15]
	v_mul_f64 v[8:9], s[0:1], v[8:9]
	v_mul_f64 v[16:17], s[0:1], v[16:17]
	v_mul_f64 v[2:3], v[2:3], v[2:3]
	v_mul_f64 v[4:5], v[4:5], v[4:5]
	v_mul_f64 v[10:11], v[10:11], v[10:11]
	v_mul_f64 v[6:7], v[6:7], v[6:7]
	v_mul_f64 v[12:13], v[12:13], v[12:13]
	v_mul_f64 v[14:15], v[14:15], v[14:15]
	v_mul_f64 v[8:9], v[8:9], v[8:9]
	v_mul_f64 v[16:17], v[16:17], v[16:17]
	v_mul_f64 v[2:3], s[0:1], v[2:3]
	v_mul_f64 v[4:5], s[0:1], v[4:5]
	v_mul_f64 v[10:11], s[0:1], v[10:11]
	v_mul_f64 v[6:7], s[0:1], v[6:7]
	v_mul_f64 v[12:13], s[0:1], v[12:13]
	v_mul_f64 v[14:15], s[0:1], v[14:15]
	v_mul_f64 v[8:9], s[0:1], v[8:9]
	v_mul_f64 v[16:17], s[0:1], v[16:17]
	v_mul_f64 v[2:3], v[2:3], v[2:3]
	v_mul_f64 v[4:5], v[4:5], v[4:5]
	v_mul_f64 v[10:11], v[10:11], v[10:11]
	v_mul_f64 v[6:7], v[6:7], v[6:7]
	v_mul_f64 v[12:13], v[12:13], v[12:13]
	v_mul_f64 v[14:15], v[14:15], v[14:15]
	v_mul_f64 v[8:9], v[8:9], v[8:9]
	v_mul_f64 v[16:17], v[16:17], v[16:17]
	v_mul_f64 v[2:3], s[0:1], v[2:3]
	v_mul_f64 v[4:5], s[0:1], v[4:5]
	v_mul_f64 v[10:11], s[0:1], v[10:11]
	v_mul_f64 v[6:7], s[0:1], v[6:7]
	v_mul_f64 v[12:13], s[0:1], v[12:13]
	v_mul_f64 v[14:15], s[0:1], v[14:15]
	v_mul_f64 v[8:9], s[0:1], v[8:9]
	v_mul_f64 v[16:17], s[0:1], v[16:17]
	v_mul_f64 v[2:3], v[2:3], v[2:3]
	v_mul_f64 v[4:5], v[4:5], v[4:5]
	v_mul_f64 v[10:11], v[10:11], v[10:11]
	v_mul_f64 v[6:7], v[6:7], v[6:7]
	v_mul_f64 v[12:13], v[12:13], v[12:13]
	v_mul_f64 v[14:15], v[14:15], v[14:15]
	v_mul_f64 v[8:9], v[8:9], v[8:9]
	v_mul_f64 v[16:17], v[16:17], v[16:17]
	v_mul_f64 v[2:3], s[0:1], v[2:3]
	v_mul_f64 v[4:5], s[0:1], v[4:5]
	v_mul_f64 v[10:11], s[0:1], v[10:11]
	v_mul_f64 v[6:7], s[0:1], v[6:7]
	v_mul_f64 v[12:13], s[0:1], v[12:13]
	v_mul_f64 v[14:15], s[0:1], v[14:15]
	v_mul_f64 v[8:9], s[0:1], v[8:9]
	v_mul_f64 v[16:17], s[0:1], v[16:17]
	v_mul_f64 v[2:3], v[2:3], v[2:3]
	v_mul_f64 v[4:5], v[4:5], v[4:5]
	v_mul_f64 v[10:11], v[10:11], v[10:11]
	v_mul_f64 v[6:7], v[6:7], v[6:7]
	v_mul_f64 v[12:13], v[12:13], v[12:13]
	v_mul_f64 v[14:15], v[14:15], v[14:15]
	v_mul_f64 v[8:9], v[8:9], v[8:9]
	v_mul_f64 v[16:17], v[16:17], v[16:17]
	v_mul_f64 v[2:3], s[0:1], v[2:3]
	v_mul_f64 v[4:5], s[0:1], v[4:5]
	v_mul_f64 v[10:11], s[0:1], v[10:11]
	v_mul_f64 v[6:7], s[0:1], v[6:7]
	v_mul_f64 v[12:13], s[0:1], v[12:13]
	v_mul_f64 v[14:15], s[0:1], v[14:15]
	v_mul_f64 v[8:9], s[0:1], v[8:9]
	v_mul_f64 v[16:17], s[0:1], v[16:17]
	v_mul_f64 v[2:3], v[2:3], v[2:3]
	v_mul_f64 v[4:5], v[4:5], v[4:5]
	v_mul_f64 v[10:11], v[10:11], v[10:11]
	v_mul_f64 v[6:7], v[6:7], v[6:7]
	v_mul_f64 v[12:13], v[12:13], v[12:13]
	v_mul_f64 v[14:15], v[14:15], v[14:15]
	v_mul_f64 v[8:9], v[8:9], v[8:9]
	v_mul_f64 v[16:17], v[16:17], v[16:17]
	v_mul_f64 v[2:3], s[0:1], v[2:3]
	v_mul_f64 v[4:5], s[0:1], v[4:5]
	v_mul_f64 v[10:11], s[0:1], v[10:11]
	v_mul_f64 v[6:7], s[0:1], v[6:7]
	v_mul_f64 v[12:13], s[0:1], v[12:13]
	v_mul_f64 v[14:15], s[0:1], v[14:15]
	v_mul_f64 v[8:9], s[0:1], v[8:9]
	v_mul_f64 v[16:17], s[0:1], v[16:17]
	v_mul_f64 v[2:3], v[2:3], v[2:3]
	v_mul_f64 v[4:5], v[4:5], v[4:5]
	v_mul_f64 v[10:11], v[10:11], v[10:11]
	v_mul_f64 v[6:7], v[6:7], v[6:7]
	v_mul_f64 v[12:13], v[12:13], v[12:13]
	v_mul_f64 v[14:15], v[14:15], v[14:15]
	v_mul_f64 v[8:9], v[8:9], v[8:9]
	v_mul_f64 v[16:17], v[16:17], v[16:17]
	v_mul_f64 v[2:3], s[0:1], v[2:3]
	v_mul_f64 v[4:5], s[0:1], v[4:5]
	v_mul_f64 v[10:11], s[0:1], v[10:11]
	v_mul_f64 v[6:7], s[0:1], v[6:7]
	v_mul_f64 v[12:13], s[0:1], v[12:13]
	v_mul_f64 v[14:15], s[0:1], v[14:15]
	v_mul_f64 v[8:9], s[0:1], v[8:9]
	v_mul_f64 v[16:17], s[0:1], v[16:17]
	v_mul_f64 v[2:3], v[2:3], v[2:3]
	v_mul_f64 v[4:5], v[4:5], v[4:5]
	v_mul_f64 v[10:11], v[10:11], v[10:11]
	v_mul_f64 v[6:7], v[6:7], v[6:7]
	v_mul_f64 v[12:13], v[12:13], v[12:13]
	v_mul_f64 v[14:15], v[14:15], v[14:15]
	v_mul_f64 v[8:9], v[8:9], v[8:9]
	v_mul_f64 v[16:17], v[16:17], v[16:17]
	v_mul_f64 v[2:3], s[0:1], v[2:3]
	v_mul_f64 v[4:5], s[0:1], v[4:5]
	v_mul_f64 v[10:11], s[0:1], v[10:11]
	v_mul_f64 v[6:7], s[0:1], v[6:7]
	v_mul_f64 v[12:13], s[0:1], v[12:13]
	v_mul_f64 v[14:15], s[0:1], v[14:15]
	v_mul_f64 v[8:9], s[0:1], v[8:9]
	v_mul_f64 v[16:17], s[0:1], v[16:17]
	v_mul_f64 v[2:3], v[2:3], v[2:3]
	v_mul_f64 v[4:5], v[4:5], v[4:5]
	v_mul_f64 v[10:11], v[10:11], v[10:11]
	v_mul_f64 v[6:7], v[6:7], v[6:7]
	v_mul_f64 v[12:13], v[12:13], v[12:13]
	v_mul_f64 v[14:15], v[14:15], v[14:15]
	v_mul_f64 v[8:9], v[8:9], v[8:9]
	v_mul_f64 v[16:17], v[16:17], v[16:17]
	v_mul_f64 v[2:3], s[0:1], v[2:3]
	v_mul_f64 v[4:5], s[0:1], v[4:5]
	v_mul_f64 v[10:11], s[0:1], v[10:11]
	v_mul_f64 v[6:7], s[0:1], v[6:7]
	v_mul_f64 v[12:13], s[0:1], v[12:13]
	v_mul_f64 v[14:15], s[0:1], v[14:15]
	v_mul_f64 v[8:9], s[0:1], v[8:9]
	v_mul_f64 v[16:17], s[0:1], v[16:17]
	v_mul_f64 v[2:3], v[2:3], v[2:3]
	v_mul_f64 v[4:5], v[4:5], v[4:5]
	v_mul_f64 v[10:11], v[10:11], v[10:11]
	v_mul_f64 v[6:7], v[6:7], v[6:7]
	v_mul_f64 v[12:13], v[12:13], v[12:13]
	v_mul_f64 v[14:15], v[14:15], v[14:15]
	v_mul_f64 v[8:9], v[8:9], v[8:9]
	v_mul_f64 v[16:17], v[16:17], v[16:17]
	v_mul_f64 v[2:3], s[0:1], v[2:3]
	v_mul_f64 v[4:5], s[0:1], v[4:5]
	v_mul_f64 v[10:11], s[0:1], v[10:11]
	v_mul_f64 v[6:7], s[0:1], v[6:7]
	v_mul_f64 v[12:13], s[0:1], v[12:13]
	v_mul_f64 v[14:15], s[0:1], v[14:15]
	v_mul_f64 v[8:9], s[0:1], v[8:9]
	v_mul_f64 v[16:17], s[0:1], v[16:17]
	v_mul_f64 v[2:3], v[2:3], v[2:3]
	v_mul_f64 v[4:5], v[4:5], v[4:5]
	v_mul_f64 v[10:11], v[10:11], v[10:11]
	v_mul_f64 v[6:7], v[6:7], v[6:7]
	v_mul_f64 v[12:13], v[12:13], v[12:13]
	v_mul_f64 v[14:15], v[14:15], v[14:15]
	v_mul_f64 v[8:9], v[8:9], v[8:9]
	v_mul_f64 v[16:17], v[16:17], v[16:17]
	v_mul_f64 v[2:3], s[0:1], v[2:3]
	v_mul_f64 v[4:5], s[0:1], v[4:5]
	v_mul_f64 v[10:11], s[0:1], v[10:11]
	v_mul_f64 v[6:7], s[0:1], v[6:7]
	v_mul_f64 v[12:13], s[0:1], v[12:13]
	v_mul_f64 v[14:15], s[0:1], v[14:15]
	v_mul_f64 v[8:9], s[0:1], v[8:9]
	v_mul_f64 v[16:17], s[0:1], v[16:17]
	v_mul_f64 v[2:3], v[2:3], v[2:3]
	v_mul_f64 v[4:5], v[4:5], v[4:5]
	v_mul_f64 v[10:11], v[10:11], v[10:11]
	v_mul_f64 v[6:7], v[6:7], v[6:7]
	v_mul_f64 v[12:13], v[12:13], v[12:13]
	v_mul_f64 v[14:15], v[14:15], v[14:15]
	v_mul_f64 v[8:9], v[8:9], v[8:9]
	v_mul_f64 v[16:17], v[16:17], v[16:17]
	v_mul_f64 v[2:3], s[0:1], v[2:3]
	v_mul_f64 v[4:5], s[0:1], v[4:5]
	v_mul_f64 v[10:11], s[0:1], v[10:11]
	v_mul_f64 v[6:7], s[0:1], v[6:7]
	v_mul_f64 v[12:13], s[0:1], v[12:13]
	v_mul_f64 v[14:15], s[0:1], v[14:15]
	v_mul_f64 v[8:9], s[0:1], v[8:9]
	v_mul_f64 v[16:17], s[0:1], v[16:17]
	v_mul_f64 v[2:3], v[2:3], v[2:3]
	v_mul_f64 v[4:5], v[4:5], v[4:5]
	v_mul_f64 v[10:11], v[10:11], v[10:11]
	v_mul_f64 v[6:7], v[6:7], v[6:7]
	v_mul_f64 v[12:13], v[12:13], v[12:13]
	v_mul_f64 v[14:15], v[14:15], v[14:15]
	v_mul_f64 v[8:9], v[8:9], v[8:9]
	v_mul_f64 v[16:17], v[16:17], v[16:17]
	v_mul_f64 v[2:3], s[0:1], v[2:3]
	v_mul_f64 v[4:5], s[0:1], v[4:5]
	v_mul_f64 v[10:11], s[0:1], v[10:11]
	v_mul_f64 v[6:7], s[0:1], v[6:7]
	v_mul_f64 v[12:13], s[0:1], v[12:13]
	v_mul_f64 v[14:15], s[0:1], v[14:15]
	v_mul_f64 v[8:9], s[0:1], v[8:9]
	v_mul_f64 v[16:17], s[0:1], v[16:17]
	v_mul_f64 v[2:3], v[2:3], v[2:3]
	v_mul_f64 v[4:5], v[4:5], v[4:5]
	v_mul_f64 v[10:11], v[10:11], v[10:11]
	v_mul_f64 v[6:7], v[6:7], v[6:7]
	v_mul_f64 v[12:13], v[12:13], v[12:13]
	v_mul_f64 v[14:15], v[14:15], v[14:15]
	v_mul_f64 v[8:9], v[8:9], v[8:9]
	v_mul_f64 v[16:17], v[16:17], v[16:17]
	v_mul_f64 v[2:3], s[0:1], v[2:3]
	v_mul_f64 v[4:5], s[0:1], v[4:5]
	v_mul_f64 v[10:11], s[0:1], v[10:11]
	v_mul_f64 v[6:7], s[0:1], v[6:7]
	v_mul_f64 v[12:13], s[0:1], v[12:13]
	v_mul_f64 v[14:15], s[0:1], v[14:15]
	v_mul_f64 v[8:9], s[0:1], v[8:9]
	v_mul_f64 v[16:17], s[0:1], v[16:17]
	v_mul_f64 v[2:3], v[2:3], v[2:3]
	v_mul_f64 v[4:5], v[4:5], v[4:5]
	v_mul_f64 v[10:11], v[10:11], v[10:11]
	v_mul_f64 v[6:7], v[6:7], v[6:7]
	v_mul_f64 v[12:13], v[12:13], v[12:13]
	v_mul_f64 v[14:15], v[14:15], v[14:15]
	v_mul_f64 v[8:9], v[8:9], v[8:9]
	v_mul_f64 v[16:17], v[16:17], v[16:17]
	v_mul_f64 v[2:3], s[0:1], v[2:3]
	v_mul_f64 v[4:5], s[0:1], v[4:5]
	v_mul_f64 v[10:11], s[0:1], v[10:11]
	v_mul_f64 v[6:7], s[0:1], v[6:7]
	v_mul_f64 v[12:13], s[0:1], v[12:13]
	v_mul_f64 v[14:15], s[0:1], v[14:15]
	v_mul_f64 v[8:9], s[0:1], v[8:9]
	v_mul_f64 v[16:17], s[0:1], v[16:17]
	v_mul_f64 v[2:3], v[2:3], v[2:3]
	v_mul_f64 v[4:5], v[4:5], v[4:5]
	v_mul_f64 v[10:11], v[10:11], v[10:11]
	v_mul_f64 v[6:7], v[6:7], v[6:7]
	v_mul_f64 v[12:13], v[12:13], v[12:13]
	v_mul_f64 v[14:15], v[14:15], v[14:15]
	v_mul_f64 v[8:9], v[8:9], v[8:9]
	v_mul_f64 v[16:17], v[16:17], v[16:17]
	v_mul_f64 v[2:3], s[0:1], v[2:3]
	v_mul_f64 v[4:5], s[0:1], v[4:5]
	v_mul_f64 v[10:11], s[0:1], v[10:11]
	v_mul_f64 v[6:7], s[0:1], v[6:7]
	v_mul_f64 v[12:13], s[0:1], v[12:13]
	v_mul_f64 v[14:15], s[0:1], v[14:15]
	v_mul_f64 v[8:9], s[0:1], v[8:9]
	v_mul_f64 v[16:17], s[0:1], v[16:17]
	v_mul_f64 v[2:3], v[2:3], v[2:3]
	v_mul_f64 v[4:5], v[4:5], v[4:5]
	v_mul_f64 v[10:11], v[10:11], v[10:11]
	v_mul_f64 v[6:7], v[6:7], v[6:7]
	v_mul_f64 v[12:13], v[12:13], v[12:13]
	v_mul_f64 v[14:15], v[14:15], v[14:15]
	v_mul_f64 v[8:9], v[8:9], v[8:9]
	v_mul_f64 v[16:17], v[16:17], v[16:17]
	v_mul_f64 v[2:3], s[0:1], v[2:3]
	v_mul_f64 v[4:5], s[0:1], v[4:5]
	v_mul_f64 v[10:11], s[0:1], v[10:11]
	v_mul_f64 v[6:7], s[0:1], v[6:7]
	v_mul_f64 v[12:13], s[0:1], v[12:13]
	v_mul_f64 v[14:15], s[0:1], v[14:15]
	v_mul_f64 v[8:9], s[0:1], v[8:9]
	v_mul_f64 v[16:17], s[0:1], v[16:17]
	v_mul_f64 v[2:3], v[2:3], v[2:3]
	v_mul_f64 v[4:5], v[4:5], v[4:5]
	v_mul_f64 v[10:11], v[10:11], v[10:11]
	v_mul_f64 v[6:7], v[6:7], v[6:7]
	v_mul_f64 v[12:13], v[12:13], v[12:13]
	v_mul_f64 v[14:15], v[14:15], v[14:15]
	v_mul_f64 v[8:9], v[8:9], v[8:9]
	v_mul_f64 v[16:17], v[16:17], v[16:17]
	s_add_i32 s3, s3, -1
	v_mul_f64 v[2:3], s[0:1], v[2:3]
	v_mul_f64 v[4:5], s[0:1], v[4:5]
	;; [unrolled: 1-line block ×7, first 2 shown]
	s_cmp_eq_u32 s3, 0
	v_mul_f64 v[16:17], s[0:1], v[16:17]
	s_cbranch_scc0 .LBB23_2
.LBB23_3:
	v_add_f64 v[2:3], v[2:3], v[4:5]
	v_add_f64 v[4:5], v[10:11], v[6:7]
	;; [unrolled: 1-line block ×7, first 2 shown]
	global_store_dwordx2 v[0:1], v[2:3], off
	s_endpgm
	.section	.rodata,"a",@progbits
	.p2align	6, 0x0
	.amdhsa_kernel _Z4Mul8IdEvPT_iS0_
		.amdhsa_group_segment_fixed_size 0
		.amdhsa_private_segment_fixed_size 0
		.amdhsa_kernarg_size 280
		.amdhsa_user_sgpr_count 2
		.amdhsa_user_sgpr_dispatch_ptr 0
		.amdhsa_user_sgpr_queue_ptr 0
		.amdhsa_user_sgpr_kernarg_segment_ptr 1
		.amdhsa_user_sgpr_dispatch_id 0
		.amdhsa_user_sgpr_kernarg_preload_length 0
		.amdhsa_user_sgpr_kernarg_preload_offset 0
		.amdhsa_user_sgpr_private_segment_size 0
		.amdhsa_uses_dynamic_stack 0
		.amdhsa_enable_private_segment 0
		.amdhsa_system_sgpr_workgroup_id_x 1
		.amdhsa_system_sgpr_workgroup_id_y 0
		.amdhsa_system_sgpr_workgroup_id_z 0
		.amdhsa_system_sgpr_workgroup_info 0
		.amdhsa_system_vgpr_workitem_id 0
		.amdhsa_next_free_vgpr 18
		.amdhsa_next_free_sgpr 10
		.amdhsa_accum_offset 20
		.amdhsa_reserve_vcc 0
		.amdhsa_float_round_mode_32 0
		.amdhsa_float_round_mode_16_64 0
		.amdhsa_float_denorm_mode_32 3
		.amdhsa_float_denorm_mode_16_64 3
		.amdhsa_dx10_clamp 1
		.amdhsa_ieee_mode 1
		.amdhsa_fp16_overflow 0
		.amdhsa_tg_split 0
		.amdhsa_exception_fp_ieee_invalid_op 0
		.amdhsa_exception_fp_denorm_src 0
		.amdhsa_exception_fp_ieee_div_zero 0
		.amdhsa_exception_fp_ieee_overflow 0
		.amdhsa_exception_fp_ieee_underflow 0
		.amdhsa_exception_fp_ieee_inexact 0
		.amdhsa_exception_int_div_zero 0
	.end_amdhsa_kernel
	.section	.text._Z4Mul8IdEvPT_iS0_,"axG",@progbits,_Z4Mul8IdEvPT_iS0_,comdat
.Lfunc_end23:
	.size	_Z4Mul8IdEvPT_iS0_, .Lfunc_end23-_Z4Mul8IdEvPT_iS0_
                                        ; -- End function
	.set _Z4Mul8IdEvPT_iS0_.num_vgpr, 18
	.set _Z4Mul8IdEvPT_iS0_.num_agpr, 0
	.set _Z4Mul8IdEvPT_iS0_.numbered_sgpr, 10
	.set _Z4Mul8IdEvPT_iS0_.num_named_barrier, 0
	.set _Z4Mul8IdEvPT_iS0_.private_seg_size, 0
	.set _Z4Mul8IdEvPT_iS0_.uses_vcc, 0
	.set _Z4Mul8IdEvPT_iS0_.uses_flat_scratch, 0
	.set _Z4Mul8IdEvPT_iS0_.has_dyn_sized_stack, 0
	.set _Z4Mul8IdEvPT_iS0_.has_recursion, 0
	.set _Z4Mul8IdEvPT_iS0_.has_indirect_call, 0
	.section	.AMDGPU.csdata,"",@progbits
; Kernel info:
; codeLenInByte = 3516
; TotalNumSgprs: 16
; NumVgprs: 18
; NumAgprs: 0
; TotalNumVgprs: 18
; ScratchSize: 0
; MemoryBound: 0
; FloatMode: 240
; IeeeMode: 1
; LDSByteSize: 0 bytes/workgroup (compile time only)
; SGPRBlocks: 1
; VGPRBlocks: 2
; NumSGPRsForWavesPerEU: 16
; NumVGPRsForWavesPerEU: 18
; AccumOffset: 20
; Occupancy: 8
; WaveLimiterHint : 0
; COMPUTE_PGM_RSRC2:SCRATCH_EN: 0
; COMPUTE_PGM_RSRC2:USER_SGPR: 2
; COMPUTE_PGM_RSRC2:TRAP_HANDLER: 0
; COMPUTE_PGM_RSRC2:TGID_X_EN: 1
; COMPUTE_PGM_RSRC2:TGID_Y_EN: 0
; COMPUTE_PGM_RSRC2:TGID_Z_EN: 0
; COMPUTE_PGM_RSRC2:TIDIG_COMP_CNT: 0
; COMPUTE_PGM_RSRC3_GFX90A:ACCUM_OFFSET: 4
; COMPUTE_PGM_RSRC3_GFX90A:TG_SPLIT: 0
	.section	.text._Z5MAdd1IdEvPT_iS0_S0_,"axG",@progbits,_Z5MAdd1IdEvPT_iS0_S0_,comdat
	.protected	_Z5MAdd1IdEvPT_iS0_S0_  ; -- Begin function _Z5MAdd1IdEvPT_iS0_S0_
	.globl	_Z5MAdd1IdEvPT_iS0_S0_
	.p2align	8
	.type	_Z5MAdd1IdEvPT_iS0_S0_,@function
_Z5MAdd1IdEvPT_iS0_S0_:                 ; @_Z5MAdd1IdEvPT_iS0_S0_
; %bb.0:
	s_load_dword s3, s[0:1], 0x2c
	s_load_dwordx2 s[6:7], s[0:1], 0x0
	s_load_dword s4, s[0:1], 0x8
	s_waitcnt lgkmcnt(0)
	s_and_b32 s3, s3, 0xffff
	s_mul_i32 s2, s2, s3
	v_add_u32_e32 v0, s2, v0
	v_ashrrev_i32_e32 v1, 31, v0
	v_lshl_add_u64 v[0:1], v[0:1], 3, s[6:7]
	global_load_dwordx2 v[4:5], v[0:1], off
	s_cmp_lt_i32 s4, 1
	s_cbranch_scc1 .LBB24_3
; %bb.1:
	s_load_dwordx4 s[0:3], s[0:1], 0x10
	s_waitcnt lgkmcnt(0)
	v_mov_b64_e32 v[2:3], s[0:1]
.LBB24_2:                               ; =>This Inner Loop Header: Depth=1
	s_waitcnt vmcnt(0)
	v_fma_f64 v[4:5], -s[2:3], v[4:5], v[2:3]
	v_fma_f64 v[4:5], -s[2:3], v[4:5], v[2:3]
	;; [unrolled: 1-line block ×239, first 2 shown]
	s_add_i32 s4, s4, -1
	s_cmp_eq_u32 s4, 0
	v_fma_f64 v[4:5], -s[2:3], v[4:5], v[2:3]
	s_cbranch_scc0 .LBB24_2
.LBB24_3:
	s_waitcnt vmcnt(0)
	global_store_dwordx2 v[0:1], v[4:5], off
	s_endpgm
	.section	.rodata,"a",@progbits
	.p2align	6, 0x0
	.amdhsa_kernel _Z5MAdd1IdEvPT_iS0_S0_
		.amdhsa_group_segment_fixed_size 0
		.amdhsa_private_segment_fixed_size 0
		.amdhsa_kernarg_size 288
		.amdhsa_user_sgpr_count 2
		.amdhsa_user_sgpr_dispatch_ptr 0
		.amdhsa_user_sgpr_queue_ptr 0
		.amdhsa_user_sgpr_kernarg_segment_ptr 1
		.amdhsa_user_sgpr_dispatch_id 0
		.amdhsa_user_sgpr_kernarg_preload_length 0
		.amdhsa_user_sgpr_kernarg_preload_offset 0
		.amdhsa_user_sgpr_private_segment_size 0
		.amdhsa_uses_dynamic_stack 0
		.amdhsa_enable_private_segment 0
		.amdhsa_system_sgpr_workgroup_id_x 1
		.amdhsa_system_sgpr_workgroup_id_y 0
		.amdhsa_system_sgpr_workgroup_id_z 0
		.amdhsa_system_sgpr_workgroup_info 0
		.amdhsa_system_vgpr_workitem_id 0
		.amdhsa_next_free_vgpr 6
		.amdhsa_next_free_sgpr 8
		.amdhsa_accum_offset 8
		.amdhsa_reserve_vcc 0
		.amdhsa_float_round_mode_32 0
		.amdhsa_float_round_mode_16_64 0
		.amdhsa_float_denorm_mode_32 3
		.amdhsa_float_denorm_mode_16_64 3
		.amdhsa_dx10_clamp 1
		.amdhsa_ieee_mode 1
		.amdhsa_fp16_overflow 0
		.amdhsa_tg_split 0
		.amdhsa_exception_fp_ieee_invalid_op 0
		.amdhsa_exception_fp_denorm_src 0
		.amdhsa_exception_fp_ieee_div_zero 0
		.amdhsa_exception_fp_ieee_overflow 0
		.amdhsa_exception_fp_ieee_underflow 0
		.amdhsa_exception_fp_ieee_inexact 0
		.amdhsa_exception_int_div_zero 0
	.end_amdhsa_kernel
	.section	.text._Z5MAdd1IdEvPT_iS0_S0_,"axG",@progbits,_Z5MAdd1IdEvPT_iS0_S0_,comdat
.Lfunc_end24:
	.size	_Z5MAdd1IdEvPT_iS0_S0_, .Lfunc_end24-_Z5MAdd1IdEvPT_iS0_S0_
                                        ; -- End function
	.set _Z5MAdd1IdEvPT_iS0_S0_.num_vgpr, 6
	.set _Z5MAdd1IdEvPT_iS0_S0_.num_agpr, 0
	.set _Z5MAdd1IdEvPT_iS0_S0_.numbered_sgpr, 8
	.set _Z5MAdd1IdEvPT_iS0_S0_.num_named_barrier, 0
	.set _Z5MAdd1IdEvPT_iS0_S0_.private_seg_size, 0
	.set _Z5MAdd1IdEvPT_iS0_S0_.uses_vcc, 0
	.set _Z5MAdd1IdEvPT_iS0_S0_.uses_flat_scratch, 0
	.set _Z5MAdd1IdEvPT_iS0_S0_.has_dyn_sized_stack, 0
	.set _Z5MAdd1IdEvPT_iS0_S0_.has_recursion, 0
	.set _Z5MAdd1IdEvPT_iS0_S0_.has_indirect_call, 0
	.section	.AMDGPU.csdata,"",@progbits
; Kernel info:
; codeLenInByte = 2040
; TotalNumSgprs: 14
; NumVgprs: 6
; NumAgprs: 0
; TotalNumVgprs: 6
; ScratchSize: 0
; MemoryBound: 0
; FloatMode: 240
; IeeeMode: 1
; LDSByteSize: 0 bytes/workgroup (compile time only)
; SGPRBlocks: 1
; VGPRBlocks: 0
; NumSGPRsForWavesPerEU: 14
; NumVGPRsForWavesPerEU: 6
; AccumOffset: 8
; Occupancy: 8
; WaveLimiterHint : 0
; COMPUTE_PGM_RSRC2:SCRATCH_EN: 0
; COMPUTE_PGM_RSRC2:USER_SGPR: 2
; COMPUTE_PGM_RSRC2:TRAP_HANDLER: 0
; COMPUTE_PGM_RSRC2:TGID_X_EN: 1
; COMPUTE_PGM_RSRC2:TGID_Y_EN: 0
; COMPUTE_PGM_RSRC2:TGID_Z_EN: 0
; COMPUTE_PGM_RSRC2:TIDIG_COMP_CNT: 0
; COMPUTE_PGM_RSRC3_GFX90A:ACCUM_OFFSET: 1
; COMPUTE_PGM_RSRC3_GFX90A:TG_SPLIT: 0
	.section	.text._Z5MAdd2IdEvPT_iS0_S0_,"axG",@progbits,_Z5MAdd2IdEvPT_iS0_S0_,comdat
	.protected	_Z5MAdd2IdEvPT_iS0_S0_  ; -- Begin function _Z5MAdd2IdEvPT_iS0_S0_
	.globl	_Z5MAdd2IdEvPT_iS0_S0_
	.p2align	8
	.type	_Z5MAdd2IdEvPT_iS0_S0_,@function
_Z5MAdd2IdEvPT_iS0_S0_:                 ; @_Z5MAdd2IdEvPT_iS0_S0_
; %bb.0:
	s_load_dword s3, s[0:1], 0x2c
	s_load_dwordx2 s[6:7], s[0:1], 0x0
	s_load_dword s4, s[0:1], 0x8
	s_waitcnt lgkmcnt(0)
	s_and_b32 s3, s3, 0xffff
	s_mul_i32 s2, s2, s3
	v_add_u32_e32 v0, s2, v0
	v_ashrrev_i32_e32 v1, 31, v0
	v_lshl_add_u64 v[0:1], v[0:1], 3, s[6:7]
	global_load_dwordx2 v[4:5], v[0:1], off
	s_mov_b32 s2, 0
	s_mov_b32 s3, 0x40240000
	s_cmp_lt_i32 s4, 1
	s_waitcnt vmcnt(0)
	v_add_f64 v[6:7], -v[4:5], s[2:3]
	s_cbranch_scc1 .LBB25_3
; %bb.1:
	s_load_dwordx4 s[0:3], s[0:1], 0x10
	s_waitcnt lgkmcnt(0)
	v_mov_b64_e32 v[2:3], s[0:1]
.LBB25_2:                               ; =>This Inner Loop Header: Depth=1
	v_fma_f64 v[4:5], -s[2:3], v[4:5], v[2:3]
	v_fma_f64 v[6:7], -s[2:3], v[6:7], v[2:3]
	;; [unrolled: 1-line block ×238, first 2 shown]
	s_add_i32 s4, s4, -1
	v_fma_f64 v[4:5], -s[2:3], v[4:5], v[2:3]
	s_cmp_eq_u32 s4, 0
	v_fma_f64 v[6:7], -s[2:3], v[6:7], v[2:3]
	s_cbranch_scc0 .LBB25_2
.LBB25_3:
	v_add_f64 v[2:3], v[4:5], v[6:7]
	global_store_dwordx2 v[0:1], v[2:3], off
	s_endpgm
	.section	.rodata,"a",@progbits
	.p2align	6, 0x0
	.amdhsa_kernel _Z5MAdd2IdEvPT_iS0_S0_
		.amdhsa_group_segment_fixed_size 0
		.amdhsa_private_segment_fixed_size 0
		.amdhsa_kernarg_size 288
		.amdhsa_user_sgpr_count 2
		.amdhsa_user_sgpr_dispatch_ptr 0
		.amdhsa_user_sgpr_queue_ptr 0
		.amdhsa_user_sgpr_kernarg_segment_ptr 1
		.amdhsa_user_sgpr_dispatch_id 0
		.amdhsa_user_sgpr_kernarg_preload_length 0
		.amdhsa_user_sgpr_kernarg_preload_offset 0
		.amdhsa_user_sgpr_private_segment_size 0
		.amdhsa_uses_dynamic_stack 0
		.amdhsa_enable_private_segment 0
		.amdhsa_system_sgpr_workgroup_id_x 1
		.amdhsa_system_sgpr_workgroup_id_y 0
		.amdhsa_system_sgpr_workgroup_id_z 0
		.amdhsa_system_sgpr_workgroup_info 0
		.amdhsa_system_vgpr_workitem_id 0
		.amdhsa_next_free_vgpr 8
		.amdhsa_next_free_sgpr 8
		.amdhsa_accum_offset 8
		.amdhsa_reserve_vcc 0
		.amdhsa_float_round_mode_32 0
		.amdhsa_float_round_mode_16_64 0
		.amdhsa_float_denorm_mode_32 3
		.amdhsa_float_denorm_mode_16_64 3
		.amdhsa_dx10_clamp 1
		.amdhsa_ieee_mode 1
		.amdhsa_fp16_overflow 0
		.amdhsa_tg_split 0
		.amdhsa_exception_fp_ieee_invalid_op 0
		.amdhsa_exception_fp_denorm_src 0
		.amdhsa_exception_fp_ieee_div_zero 0
		.amdhsa_exception_fp_ieee_overflow 0
		.amdhsa_exception_fp_ieee_underflow 0
		.amdhsa_exception_fp_ieee_inexact 0
		.amdhsa_exception_int_div_zero 0
	.end_amdhsa_kernel
	.section	.text._Z5MAdd2IdEvPT_iS0_S0_,"axG",@progbits,_Z5MAdd2IdEvPT_iS0_S0_,comdat
.Lfunc_end25:
	.size	_Z5MAdd2IdEvPT_iS0_S0_, .Lfunc_end25-_Z5MAdd2IdEvPT_iS0_S0_
                                        ; -- End function
	.set _Z5MAdd2IdEvPT_iS0_S0_.num_vgpr, 8
	.set _Z5MAdd2IdEvPT_iS0_S0_.num_agpr, 0
	.set _Z5MAdd2IdEvPT_iS0_S0_.numbered_sgpr, 8
	.set _Z5MAdd2IdEvPT_iS0_S0_.num_named_barrier, 0
	.set _Z5MAdd2IdEvPT_iS0_S0_.private_seg_size, 0
	.set _Z5MAdd2IdEvPT_iS0_S0_.uses_vcc, 0
	.set _Z5MAdd2IdEvPT_iS0_S0_.uses_flat_scratch, 0
	.set _Z5MAdd2IdEvPT_iS0_S0_.has_dyn_sized_stack, 0
	.set _Z5MAdd2IdEvPT_iS0_S0_.has_recursion, 0
	.set _Z5MAdd2IdEvPT_iS0_S0_.has_indirect_call, 0
	.section	.AMDGPU.csdata,"",@progbits
; Kernel info:
; codeLenInByte = 2064
; TotalNumSgprs: 14
; NumVgprs: 8
; NumAgprs: 0
; TotalNumVgprs: 8
; ScratchSize: 0
; MemoryBound: 0
; FloatMode: 240
; IeeeMode: 1
; LDSByteSize: 0 bytes/workgroup (compile time only)
; SGPRBlocks: 1
; VGPRBlocks: 0
; NumSGPRsForWavesPerEU: 14
; NumVGPRsForWavesPerEU: 8
; AccumOffset: 8
; Occupancy: 8
; WaveLimiterHint : 0
; COMPUTE_PGM_RSRC2:SCRATCH_EN: 0
; COMPUTE_PGM_RSRC2:USER_SGPR: 2
; COMPUTE_PGM_RSRC2:TRAP_HANDLER: 0
; COMPUTE_PGM_RSRC2:TGID_X_EN: 1
; COMPUTE_PGM_RSRC2:TGID_Y_EN: 0
; COMPUTE_PGM_RSRC2:TGID_Z_EN: 0
; COMPUTE_PGM_RSRC2:TIDIG_COMP_CNT: 0
; COMPUTE_PGM_RSRC3_GFX90A:ACCUM_OFFSET: 1
; COMPUTE_PGM_RSRC3_GFX90A:TG_SPLIT: 0
	.section	.text._Z5MAdd4IdEvPT_iS0_S0_,"axG",@progbits,_Z5MAdd4IdEvPT_iS0_S0_,comdat
	.protected	_Z5MAdd4IdEvPT_iS0_S0_  ; -- Begin function _Z5MAdd4IdEvPT_iS0_S0_
	.globl	_Z5MAdd4IdEvPT_iS0_S0_
	.p2align	8
	.type	_Z5MAdd4IdEvPT_iS0_S0_,@function
_Z5MAdd4IdEvPT_iS0_S0_:                 ; @_Z5MAdd4IdEvPT_iS0_S0_
; %bb.0:
	s_load_dword s3, s[0:1], 0x2c
	s_load_dwordx2 s[6:7], s[0:1], 0x0
	s_load_dword s4, s[0:1], 0x8
	s_waitcnt lgkmcnt(0)
	s_and_b32 s3, s3, 0xffff
	s_mul_i32 s2, s2, s3
	v_add_u32_e32 v0, s2, v0
	v_ashrrev_i32_e32 v1, 31, v0
	v_lshl_add_u64 v[0:1], v[0:1], 3, s[6:7]
	global_load_dwordx2 v[4:5], v[0:1], off
	s_mov_b32 s2, 0
	s_mov_b32 s3, 0x40240000
	;; [unrolled: 1-line block ×4, first 2 shown]
	s_cmp_lt_i32 s4, 1
	s_waitcnt vmcnt(0)
	v_add_f64 v[8:9], -v[4:5], s[2:3]
	v_add_f64 v[6:7], -v[4:5], s[6:7]
	;; [unrolled: 1-line block ×3, first 2 shown]
	s_cbranch_scc1 .LBB26_3
; %bb.1:
	s_load_dwordx4 s[0:3], s[0:1], 0x10
	s_waitcnt lgkmcnt(0)
	v_mov_b64_e32 v[2:3], s[0:1]
.LBB26_2:                               ; =>This Inner Loop Header: Depth=1
	v_fma_f64 v[4:5], -s[2:3], v[4:5], v[2:3]
	v_fma_f64 v[8:9], -s[2:3], v[8:9], v[2:3]
	;; [unrolled: 1-line block ×236, first 2 shown]
	s_add_i32 s4, s4, -1
	v_fma_f64 v[4:5], -s[2:3], v[4:5], v[2:3]
	v_fma_f64 v[8:9], -s[2:3], v[8:9], v[2:3]
	;; [unrolled: 1-line block ×3, first 2 shown]
	s_cmp_eq_u32 s4, 0
	v_fma_f64 v[10:11], -s[2:3], v[10:11], v[2:3]
	s_cbranch_scc0 .LBB26_2
.LBB26_3:
	v_add_f64 v[2:3], v[4:5], v[8:9]
	v_add_f64 v[4:5], v[6:7], v[10:11]
	;; [unrolled: 1-line block ×3, first 2 shown]
	global_store_dwordx2 v[0:1], v[2:3], off
	s_endpgm
	.section	.rodata,"a",@progbits
	.p2align	6, 0x0
	.amdhsa_kernel _Z5MAdd4IdEvPT_iS0_S0_
		.amdhsa_group_segment_fixed_size 0
		.amdhsa_private_segment_fixed_size 0
		.amdhsa_kernarg_size 288
		.amdhsa_user_sgpr_count 2
		.amdhsa_user_sgpr_dispatch_ptr 0
		.amdhsa_user_sgpr_queue_ptr 0
		.amdhsa_user_sgpr_kernarg_segment_ptr 1
		.amdhsa_user_sgpr_dispatch_id 0
		.amdhsa_user_sgpr_kernarg_preload_length 0
		.amdhsa_user_sgpr_kernarg_preload_offset 0
		.amdhsa_user_sgpr_private_segment_size 0
		.amdhsa_uses_dynamic_stack 0
		.amdhsa_enable_private_segment 0
		.amdhsa_system_sgpr_workgroup_id_x 1
		.amdhsa_system_sgpr_workgroup_id_y 0
		.amdhsa_system_sgpr_workgroup_id_z 0
		.amdhsa_system_sgpr_workgroup_info 0
		.amdhsa_system_vgpr_workitem_id 0
		.amdhsa_next_free_vgpr 12
		.amdhsa_next_free_sgpr 8
		.amdhsa_accum_offset 12
		.amdhsa_reserve_vcc 0
		.amdhsa_float_round_mode_32 0
		.amdhsa_float_round_mode_16_64 0
		.amdhsa_float_denorm_mode_32 3
		.amdhsa_float_denorm_mode_16_64 3
		.amdhsa_dx10_clamp 1
		.amdhsa_ieee_mode 1
		.amdhsa_fp16_overflow 0
		.amdhsa_tg_split 0
		.amdhsa_exception_fp_ieee_invalid_op 0
		.amdhsa_exception_fp_denorm_src 0
		.amdhsa_exception_fp_ieee_div_zero 0
		.amdhsa_exception_fp_ieee_overflow 0
		.amdhsa_exception_fp_ieee_underflow 0
		.amdhsa_exception_fp_ieee_inexact 0
		.amdhsa_exception_int_div_zero 0
	.end_amdhsa_kernel
	.section	.text._Z5MAdd4IdEvPT_iS0_S0_,"axG",@progbits,_Z5MAdd4IdEvPT_iS0_S0_,comdat
.Lfunc_end26:
	.size	_Z5MAdd4IdEvPT_iS0_S0_, .Lfunc_end26-_Z5MAdd4IdEvPT_iS0_S0_
                                        ; -- End function
	.set _Z5MAdd4IdEvPT_iS0_S0_.num_vgpr, 12
	.set _Z5MAdd4IdEvPT_iS0_S0_.num_agpr, 0
	.set _Z5MAdd4IdEvPT_iS0_S0_.numbered_sgpr, 8
	.set _Z5MAdd4IdEvPT_iS0_S0_.num_named_barrier, 0
	.set _Z5MAdd4IdEvPT_iS0_S0_.private_seg_size, 0
	.set _Z5MAdd4IdEvPT_iS0_S0_.uses_vcc, 0
	.set _Z5MAdd4IdEvPT_iS0_S0_.uses_flat_scratch, 0
	.set _Z5MAdd4IdEvPT_iS0_S0_.has_dyn_sized_stack, 0
	.set _Z5MAdd4IdEvPT_iS0_S0_.has_recursion, 0
	.set _Z5MAdd4IdEvPT_iS0_S0_.has_indirect_call, 0
	.section	.AMDGPU.csdata,"",@progbits
; Kernel info:
; codeLenInByte = 2108
; TotalNumSgprs: 14
; NumVgprs: 12
; NumAgprs: 0
; TotalNumVgprs: 12
; ScratchSize: 0
; MemoryBound: 0
; FloatMode: 240
; IeeeMode: 1
; LDSByteSize: 0 bytes/workgroup (compile time only)
; SGPRBlocks: 1
; VGPRBlocks: 1
; NumSGPRsForWavesPerEU: 14
; NumVGPRsForWavesPerEU: 12
; AccumOffset: 12
; Occupancy: 8
; WaveLimiterHint : 0
; COMPUTE_PGM_RSRC2:SCRATCH_EN: 0
; COMPUTE_PGM_RSRC2:USER_SGPR: 2
; COMPUTE_PGM_RSRC2:TRAP_HANDLER: 0
; COMPUTE_PGM_RSRC2:TGID_X_EN: 1
; COMPUTE_PGM_RSRC2:TGID_Y_EN: 0
; COMPUTE_PGM_RSRC2:TGID_Z_EN: 0
; COMPUTE_PGM_RSRC2:TIDIG_COMP_CNT: 0
; COMPUTE_PGM_RSRC3_GFX90A:ACCUM_OFFSET: 2
; COMPUTE_PGM_RSRC3_GFX90A:TG_SPLIT: 0
	.section	.text._Z5MAdd8IdEvPT_iS0_S0_,"axG",@progbits,_Z5MAdd8IdEvPT_iS0_S0_,comdat
	.protected	_Z5MAdd8IdEvPT_iS0_S0_  ; -- Begin function _Z5MAdd8IdEvPT_iS0_S0_
	.globl	_Z5MAdd8IdEvPT_iS0_S0_
	.p2align	8
	.type	_Z5MAdd8IdEvPT_iS0_S0_,@function
_Z5MAdd8IdEvPT_iS0_S0_:                 ; @_Z5MAdd8IdEvPT_iS0_S0_
; %bb.0:
	s_load_dword s3, s[0:1], 0x2c
	s_load_dwordx2 s[6:7], s[0:1], 0x0
	s_load_dword s4, s[0:1], 0x8
	s_mov_b32 s8, 0
	s_mov_b32 s10, 0
	s_waitcnt lgkmcnt(0)
	s_and_b32 s3, s3, 0xffff
	s_mul_i32 s2, s2, s3
	v_add_u32_e32 v0, s2, v0
	v_ashrrev_i32_e32 v1, 31, v0
	v_lshl_add_u64 v[0:1], v[0:1], 3, s[6:7]
	global_load_dwordx2 v[4:5], v[0:1], off
	s_mov_b32 s2, 0
	s_mov_b32 s3, 0x40240000
	;; [unrolled: 1-line block ×6, first 2 shown]
	s_cmp_lt_i32 s4, 1
	s_waitcnt vmcnt(0)
	v_add_f64 v[12:13], -v[4:5], s[2:3]
	v_add_f64 v[10:11], -v[4:5], s[6:7]
	;; [unrolled: 1-line block ×7, first 2 shown]
	s_cbranch_scc1 .LBB27_3
; %bb.1:
	s_load_dwordx4 s[0:3], s[0:1], 0x10
	s_waitcnt lgkmcnt(0)
	v_mov_b64_e32 v[2:3], s[0:1]
.LBB27_2:                               ; =>This Inner Loop Header: Depth=1
	v_fma_f64 v[4:5], -s[2:3], v[4:5], v[2:3]
	v_fma_f64 v[12:13], -s[2:3], v[12:13], v[2:3]
	;; [unrolled: 1-line block ×232, first 2 shown]
	s_add_i32 s4, s4, -1
	v_fma_f64 v[4:5], -s[2:3], v[4:5], v[2:3]
	v_fma_f64 v[12:13], -s[2:3], v[12:13], v[2:3]
	;; [unrolled: 1-line block ×7, first 2 shown]
	s_cmp_eq_u32 s4, 0
	v_fma_f64 v[18:19], -s[2:3], v[18:19], v[2:3]
	s_cbranch_scc0 .LBB27_2
.LBB27_3:
	v_add_f64 v[2:3], v[4:5], v[12:13]
	v_add_f64 v[4:5], v[10:11], v[16:17]
	;; [unrolled: 1-line block ×7, first 2 shown]
	global_store_dwordx2 v[0:1], v[2:3], off
	s_endpgm
	.section	.rodata,"a",@progbits
	.p2align	6, 0x0
	.amdhsa_kernel _Z5MAdd8IdEvPT_iS0_S0_
		.amdhsa_group_segment_fixed_size 0
		.amdhsa_private_segment_fixed_size 0
		.amdhsa_kernarg_size 288
		.amdhsa_user_sgpr_count 2
		.amdhsa_user_sgpr_dispatch_ptr 0
		.amdhsa_user_sgpr_queue_ptr 0
		.amdhsa_user_sgpr_kernarg_segment_ptr 1
		.amdhsa_user_sgpr_dispatch_id 0
		.amdhsa_user_sgpr_kernarg_preload_length 0
		.amdhsa_user_sgpr_kernarg_preload_offset 0
		.amdhsa_user_sgpr_private_segment_size 0
		.amdhsa_uses_dynamic_stack 0
		.amdhsa_enable_private_segment 0
		.amdhsa_system_sgpr_workgroup_id_x 1
		.amdhsa_system_sgpr_workgroup_id_y 0
		.amdhsa_system_sgpr_workgroup_id_z 0
		.amdhsa_system_sgpr_workgroup_info 0
		.amdhsa_system_vgpr_workitem_id 0
		.amdhsa_next_free_vgpr 20
		.amdhsa_next_free_sgpr 12
		.amdhsa_accum_offset 20
		.amdhsa_reserve_vcc 0
		.amdhsa_float_round_mode_32 0
		.amdhsa_float_round_mode_16_64 0
		.amdhsa_float_denorm_mode_32 3
		.amdhsa_float_denorm_mode_16_64 3
		.amdhsa_dx10_clamp 1
		.amdhsa_ieee_mode 1
		.amdhsa_fp16_overflow 0
		.amdhsa_tg_split 0
		.amdhsa_exception_fp_ieee_invalid_op 0
		.amdhsa_exception_fp_denorm_src 0
		.amdhsa_exception_fp_ieee_div_zero 0
		.amdhsa_exception_fp_ieee_overflow 0
		.amdhsa_exception_fp_ieee_underflow 0
		.amdhsa_exception_fp_ieee_inexact 0
		.amdhsa_exception_int_div_zero 0
	.end_amdhsa_kernel
	.section	.text._Z5MAdd8IdEvPT_iS0_S0_,"axG",@progbits,_Z5MAdd8IdEvPT_iS0_S0_,comdat
.Lfunc_end27:
	.size	_Z5MAdd8IdEvPT_iS0_S0_, .Lfunc_end27-_Z5MAdd8IdEvPT_iS0_S0_
                                        ; -- End function
	.set _Z5MAdd8IdEvPT_iS0_S0_.num_vgpr, 20
	.set _Z5MAdd8IdEvPT_iS0_S0_.num_agpr, 0
	.set _Z5MAdd8IdEvPT_iS0_S0_.numbered_sgpr, 12
	.set _Z5MAdd8IdEvPT_iS0_S0_.num_named_barrier, 0
	.set _Z5MAdd8IdEvPT_iS0_S0_.private_seg_size, 0
	.set _Z5MAdd8IdEvPT_iS0_S0_.uses_vcc, 0
	.set _Z5MAdd8IdEvPT_iS0_S0_.uses_flat_scratch, 0
	.set _Z5MAdd8IdEvPT_iS0_S0_.has_dyn_sized_stack, 0
	.set _Z5MAdd8IdEvPT_iS0_S0_.has_recursion, 0
	.set _Z5MAdd8IdEvPT_iS0_S0_.has_indirect_call, 0
	.section	.AMDGPU.csdata,"",@progbits
; Kernel info:
; codeLenInByte = 2196
; TotalNumSgprs: 18
; NumVgprs: 20
; NumAgprs: 0
; TotalNumVgprs: 20
; ScratchSize: 0
; MemoryBound: 0
; FloatMode: 240
; IeeeMode: 1
; LDSByteSize: 0 bytes/workgroup (compile time only)
; SGPRBlocks: 2
; VGPRBlocks: 2
; NumSGPRsForWavesPerEU: 18
; NumVGPRsForWavesPerEU: 20
; AccumOffset: 20
; Occupancy: 8
; WaveLimiterHint : 0
; COMPUTE_PGM_RSRC2:SCRATCH_EN: 0
; COMPUTE_PGM_RSRC2:USER_SGPR: 2
; COMPUTE_PGM_RSRC2:TRAP_HANDLER: 0
; COMPUTE_PGM_RSRC2:TGID_X_EN: 1
; COMPUTE_PGM_RSRC2:TGID_Y_EN: 0
; COMPUTE_PGM_RSRC2:TGID_Z_EN: 0
; COMPUTE_PGM_RSRC2:TIDIG_COMP_CNT: 0
; COMPUTE_PGM_RSRC3_GFX90A:ACCUM_OFFSET: 4
; COMPUTE_PGM_RSRC3_GFX90A:TG_SPLIT: 0
	.section	.text._Z8MulMAdd1IdEvPT_iS0_S0_,"axG",@progbits,_Z8MulMAdd1IdEvPT_iS0_S0_,comdat
	.protected	_Z8MulMAdd1IdEvPT_iS0_S0_ ; -- Begin function _Z8MulMAdd1IdEvPT_iS0_S0_
	.globl	_Z8MulMAdd1IdEvPT_iS0_S0_
	.p2align	8
	.type	_Z8MulMAdd1IdEvPT_iS0_S0_,@function
_Z8MulMAdd1IdEvPT_iS0_S0_:              ; @_Z8MulMAdd1IdEvPT_iS0_S0_
; %bb.0:
	s_load_dword s3, s[0:1], 0x2c
	s_load_dwordx2 s[6:7], s[0:1], 0x0
	s_load_dword s4, s[0:1], 0x8
	s_waitcnt lgkmcnt(0)
	s_and_b32 s3, s3, 0xffff
	s_mul_i32 s2, s2, s3
	v_add_u32_e32 v0, s2, v0
	v_ashrrev_i32_e32 v1, 31, v0
	v_lshl_add_u64 v[0:1], v[0:1], 3, s[6:7]
	global_load_dwordx2 v[4:5], v[0:1], off
	s_cmp_lt_i32 s4, 1
	s_cbranch_scc1 .LBB28_3
; %bb.1:
	s_load_dwordx4 s[0:3], s[0:1], 0x10
	s_waitcnt lgkmcnt(0)
	v_mov_b64_e32 v[2:3], s[0:1]
.LBB28_2:                               ; =>This Inner Loop Header: Depth=1
	s_waitcnt vmcnt(0)
	v_fma_f64 v[6:7], -s[2:3], v[4:5], v[2:3]
	v_mul_f64 v[4:5], v[4:5], v[6:7]
	v_fma_f64 v[6:7], -s[2:3], v[4:5], v[2:3]
	v_mul_f64 v[4:5], v[4:5], v[6:7]
	;; [unrolled: 2-line block ×159, first 2 shown]
	v_fma_f64 v[6:7], -s[2:3], v[4:5], v[2:3]
	s_add_i32 s4, s4, -1
	s_cmp_eq_u32 s4, 0
	v_mul_f64 v[4:5], v[4:5], v[6:7]
	s_cbranch_scc0 .LBB28_2
.LBB28_3:
	s_waitcnt vmcnt(0)
	global_store_dwordx2 v[0:1], v[4:5], off
	s_endpgm
	.section	.rodata,"a",@progbits
	.p2align	6, 0x0
	.amdhsa_kernel _Z8MulMAdd1IdEvPT_iS0_S0_
		.amdhsa_group_segment_fixed_size 0
		.amdhsa_private_segment_fixed_size 0
		.amdhsa_kernarg_size 288
		.amdhsa_user_sgpr_count 2
		.amdhsa_user_sgpr_dispatch_ptr 0
		.amdhsa_user_sgpr_queue_ptr 0
		.amdhsa_user_sgpr_kernarg_segment_ptr 1
		.amdhsa_user_sgpr_dispatch_id 0
		.amdhsa_user_sgpr_kernarg_preload_length 0
		.amdhsa_user_sgpr_kernarg_preload_offset 0
		.amdhsa_user_sgpr_private_segment_size 0
		.amdhsa_uses_dynamic_stack 0
		.amdhsa_enable_private_segment 0
		.amdhsa_system_sgpr_workgroup_id_x 1
		.amdhsa_system_sgpr_workgroup_id_y 0
		.amdhsa_system_sgpr_workgroup_id_z 0
		.amdhsa_system_sgpr_workgroup_info 0
		.amdhsa_system_vgpr_workitem_id 0
		.amdhsa_next_free_vgpr 8
		.amdhsa_next_free_sgpr 8
		.amdhsa_accum_offset 8
		.amdhsa_reserve_vcc 0
		.amdhsa_float_round_mode_32 0
		.amdhsa_float_round_mode_16_64 0
		.amdhsa_float_denorm_mode_32 3
		.amdhsa_float_denorm_mode_16_64 3
		.amdhsa_dx10_clamp 1
		.amdhsa_ieee_mode 1
		.amdhsa_fp16_overflow 0
		.amdhsa_tg_split 0
		.amdhsa_exception_fp_ieee_invalid_op 0
		.amdhsa_exception_fp_denorm_src 0
		.amdhsa_exception_fp_ieee_div_zero 0
		.amdhsa_exception_fp_ieee_overflow 0
		.amdhsa_exception_fp_ieee_underflow 0
		.amdhsa_exception_fp_ieee_inexact 0
		.amdhsa_exception_int_div_zero 0
	.end_amdhsa_kernel
	.section	.text._Z8MulMAdd1IdEvPT_iS0_S0_,"axG",@progbits,_Z8MulMAdd1IdEvPT_iS0_S0_,comdat
.Lfunc_end28:
	.size	_Z8MulMAdd1IdEvPT_iS0_S0_, .Lfunc_end28-_Z8MulMAdd1IdEvPT_iS0_S0_
                                        ; -- End function
	.set _Z8MulMAdd1IdEvPT_iS0_S0_.num_vgpr, 8
	.set _Z8MulMAdd1IdEvPT_iS0_S0_.num_agpr, 0
	.set _Z8MulMAdd1IdEvPT_iS0_S0_.numbered_sgpr, 8
	.set _Z8MulMAdd1IdEvPT_iS0_S0_.num_named_barrier, 0
	.set _Z8MulMAdd1IdEvPT_iS0_S0_.private_seg_size, 0
	.set _Z8MulMAdd1IdEvPT_iS0_S0_.uses_vcc, 0
	.set _Z8MulMAdd1IdEvPT_iS0_S0_.uses_flat_scratch, 0
	.set _Z8MulMAdd1IdEvPT_iS0_S0_.has_dyn_sized_stack, 0
	.set _Z8MulMAdd1IdEvPT_iS0_S0_.has_recursion, 0
	.set _Z8MulMAdd1IdEvPT_iS0_S0_.has_indirect_call, 0
	.section	.AMDGPU.csdata,"",@progbits
; Kernel info:
; codeLenInByte = 2680
; TotalNumSgprs: 14
; NumVgprs: 8
; NumAgprs: 0
; TotalNumVgprs: 8
; ScratchSize: 0
; MemoryBound: 0
; FloatMode: 240
; IeeeMode: 1
; LDSByteSize: 0 bytes/workgroup (compile time only)
; SGPRBlocks: 1
; VGPRBlocks: 0
; NumSGPRsForWavesPerEU: 14
; NumVGPRsForWavesPerEU: 8
; AccumOffset: 8
; Occupancy: 8
; WaveLimiterHint : 0
; COMPUTE_PGM_RSRC2:SCRATCH_EN: 0
; COMPUTE_PGM_RSRC2:USER_SGPR: 2
; COMPUTE_PGM_RSRC2:TRAP_HANDLER: 0
; COMPUTE_PGM_RSRC2:TGID_X_EN: 1
; COMPUTE_PGM_RSRC2:TGID_Y_EN: 0
; COMPUTE_PGM_RSRC2:TGID_Z_EN: 0
; COMPUTE_PGM_RSRC2:TIDIG_COMP_CNT: 0
; COMPUTE_PGM_RSRC3_GFX90A:ACCUM_OFFSET: 1
; COMPUTE_PGM_RSRC3_GFX90A:TG_SPLIT: 0
	.section	.text._Z8MulMAdd2IdEvPT_iS0_S0_,"axG",@progbits,_Z8MulMAdd2IdEvPT_iS0_S0_,comdat
	.protected	_Z8MulMAdd2IdEvPT_iS0_S0_ ; -- Begin function _Z8MulMAdd2IdEvPT_iS0_S0_
	.globl	_Z8MulMAdd2IdEvPT_iS0_S0_
	.p2align	8
	.type	_Z8MulMAdd2IdEvPT_iS0_S0_,@function
_Z8MulMAdd2IdEvPT_iS0_S0_:              ; @_Z8MulMAdd2IdEvPT_iS0_S0_
; %bb.0:
	s_load_dword s3, s[0:1], 0x2c
	s_load_dwordx2 s[6:7], s[0:1], 0x0
	s_load_dword s4, s[0:1], 0x8
	s_waitcnt lgkmcnt(0)
	s_and_b32 s3, s3, 0xffff
	s_mul_i32 s2, s2, s3
	v_add_u32_e32 v0, s2, v0
	v_ashrrev_i32_e32 v1, 31, v0
	v_lshl_add_u64 v[0:1], v[0:1], 3, s[6:7]
	global_load_dwordx2 v[4:5], v[0:1], off
	s_mov_b32 s2, 0
	s_mov_b32 s3, 0x40240000
	s_cmp_lt_i32 s4, 1
	s_waitcnt vmcnt(0)
	v_add_f64 v[6:7], -v[4:5], s[2:3]
	s_cbranch_scc1 .LBB29_3
; %bb.1:
	s_load_dwordx4 s[0:3], s[0:1], 0x10
	s_waitcnt lgkmcnt(0)
	v_mov_b64_e32 v[2:3], s[0:1]
.LBB29_2:                               ; =>This Inner Loop Header: Depth=1
	v_fma_f64 v[8:9], -s[2:3], v[4:5], v[2:3]
	v_mul_f64 v[4:5], v[4:5], v[8:9]
	v_fma_f64 v[8:9], -s[2:3], v[6:7], v[2:3]
	v_mul_f64 v[6:7], v[6:7], v[8:9]
	;; [unrolled: 2-line block ×159, first 2 shown]
	v_fma_f64 v[8:9], -s[2:3], v[6:7], v[2:3]
	s_add_i32 s4, s4, -1
	s_cmp_eq_u32 s4, 0
	v_mul_f64 v[6:7], v[6:7], v[8:9]
	s_cbranch_scc0 .LBB29_2
.LBB29_3:
	v_add_f64 v[2:3], v[4:5], v[6:7]
	global_store_dwordx2 v[0:1], v[2:3], off
	s_endpgm
	.section	.rodata,"a",@progbits
	.p2align	6, 0x0
	.amdhsa_kernel _Z8MulMAdd2IdEvPT_iS0_S0_
		.amdhsa_group_segment_fixed_size 0
		.amdhsa_private_segment_fixed_size 0
		.amdhsa_kernarg_size 288
		.amdhsa_user_sgpr_count 2
		.amdhsa_user_sgpr_dispatch_ptr 0
		.amdhsa_user_sgpr_queue_ptr 0
		.amdhsa_user_sgpr_kernarg_segment_ptr 1
		.amdhsa_user_sgpr_dispatch_id 0
		.amdhsa_user_sgpr_kernarg_preload_length 0
		.amdhsa_user_sgpr_kernarg_preload_offset 0
		.amdhsa_user_sgpr_private_segment_size 0
		.amdhsa_uses_dynamic_stack 0
		.amdhsa_enable_private_segment 0
		.amdhsa_system_sgpr_workgroup_id_x 1
		.amdhsa_system_sgpr_workgroup_id_y 0
		.amdhsa_system_sgpr_workgroup_id_z 0
		.amdhsa_system_sgpr_workgroup_info 0
		.amdhsa_system_vgpr_workitem_id 0
		.amdhsa_next_free_vgpr 10
		.amdhsa_next_free_sgpr 8
		.amdhsa_accum_offset 12
		.amdhsa_reserve_vcc 0
		.amdhsa_float_round_mode_32 0
		.amdhsa_float_round_mode_16_64 0
		.amdhsa_float_denorm_mode_32 3
		.amdhsa_float_denorm_mode_16_64 3
		.amdhsa_dx10_clamp 1
		.amdhsa_ieee_mode 1
		.amdhsa_fp16_overflow 0
		.amdhsa_tg_split 0
		.amdhsa_exception_fp_ieee_invalid_op 0
		.amdhsa_exception_fp_denorm_src 0
		.amdhsa_exception_fp_ieee_div_zero 0
		.amdhsa_exception_fp_ieee_overflow 0
		.amdhsa_exception_fp_ieee_underflow 0
		.amdhsa_exception_fp_ieee_inexact 0
		.amdhsa_exception_int_div_zero 0
	.end_amdhsa_kernel
	.section	.text._Z8MulMAdd2IdEvPT_iS0_S0_,"axG",@progbits,_Z8MulMAdd2IdEvPT_iS0_S0_,comdat
.Lfunc_end29:
	.size	_Z8MulMAdd2IdEvPT_iS0_S0_, .Lfunc_end29-_Z8MulMAdd2IdEvPT_iS0_S0_
                                        ; -- End function
	.set _Z8MulMAdd2IdEvPT_iS0_S0_.num_vgpr, 10
	.set _Z8MulMAdd2IdEvPT_iS0_S0_.num_agpr, 0
	.set _Z8MulMAdd2IdEvPT_iS0_S0_.numbered_sgpr, 8
	.set _Z8MulMAdd2IdEvPT_iS0_S0_.num_named_barrier, 0
	.set _Z8MulMAdd2IdEvPT_iS0_S0_.private_seg_size, 0
	.set _Z8MulMAdd2IdEvPT_iS0_S0_.uses_vcc, 0
	.set _Z8MulMAdd2IdEvPT_iS0_S0_.uses_flat_scratch, 0
	.set _Z8MulMAdd2IdEvPT_iS0_S0_.has_dyn_sized_stack, 0
	.set _Z8MulMAdd2IdEvPT_iS0_S0_.has_recursion, 0
	.set _Z8MulMAdd2IdEvPT_iS0_S0_.has_indirect_call, 0
	.section	.AMDGPU.csdata,"",@progbits
; Kernel info:
; codeLenInByte = 2704
; TotalNumSgprs: 14
; NumVgprs: 10
; NumAgprs: 0
; TotalNumVgprs: 10
; ScratchSize: 0
; MemoryBound: 0
; FloatMode: 240
; IeeeMode: 1
; LDSByteSize: 0 bytes/workgroup (compile time only)
; SGPRBlocks: 1
; VGPRBlocks: 1
; NumSGPRsForWavesPerEU: 14
; NumVGPRsForWavesPerEU: 10
; AccumOffset: 12
; Occupancy: 8
; WaveLimiterHint : 0
; COMPUTE_PGM_RSRC2:SCRATCH_EN: 0
; COMPUTE_PGM_RSRC2:USER_SGPR: 2
; COMPUTE_PGM_RSRC2:TRAP_HANDLER: 0
; COMPUTE_PGM_RSRC2:TGID_X_EN: 1
; COMPUTE_PGM_RSRC2:TGID_Y_EN: 0
; COMPUTE_PGM_RSRC2:TGID_Z_EN: 0
; COMPUTE_PGM_RSRC2:TIDIG_COMP_CNT: 0
; COMPUTE_PGM_RSRC3_GFX90A:ACCUM_OFFSET: 2
; COMPUTE_PGM_RSRC3_GFX90A:TG_SPLIT: 0
	.section	.text._Z8MulMAdd4IdEvPT_iS0_S0_,"axG",@progbits,_Z8MulMAdd4IdEvPT_iS0_S0_,comdat
	.protected	_Z8MulMAdd4IdEvPT_iS0_S0_ ; -- Begin function _Z8MulMAdd4IdEvPT_iS0_S0_
	.globl	_Z8MulMAdd4IdEvPT_iS0_S0_
	.p2align	8
	.type	_Z8MulMAdd4IdEvPT_iS0_S0_,@function
_Z8MulMAdd4IdEvPT_iS0_S0_:              ; @_Z8MulMAdd4IdEvPT_iS0_S0_
; %bb.0:
	s_load_dword s3, s[0:1], 0x2c
	s_load_dwordx2 s[6:7], s[0:1], 0x0
	s_load_dword s4, s[0:1], 0x8
	s_waitcnt lgkmcnt(0)
	s_and_b32 s3, s3, 0xffff
	s_mul_i32 s2, s2, s3
	v_add_u32_e32 v0, s2, v0
	v_ashrrev_i32_e32 v1, 31, v0
	v_lshl_add_u64 v[0:1], v[0:1], 3, s[6:7]
	global_load_dwordx2 v[4:5], v[0:1], off
	s_mov_b32 s2, 0
	s_mov_b32 s3, 0x40240000
	;; [unrolled: 1-line block ×4, first 2 shown]
	s_cmp_lt_i32 s4, 1
	s_waitcnt vmcnt(0)
	v_add_f64 v[8:9], -v[4:5], s[2:3]
	v_add_f64 v[6:7], -v[4:5], s[6:7]
	;; [unrolled: 1-line block ×3, first 2 shown]
	s_cbranch_scc1 .LBB30_3
; %bb.1:
	s_load_dwordx4 s[0:3], s[0:1], 0x10
	s_waitcnt lgkmcnt(0)
	v_mov_b64_e32 v[2:3], s[0:1]
.LBB30_2:                               ; =>This Inner Loop Header: Depth=1
	v_fma_f64 v[12:13], -s[2:3], v[4:5], v[2:3]
	v_mul_f64 v[4:5], v[4:5], v[12:13]
	v_fma_f64 v[12:13], -s[2:3], v[8:9], v[2:3]
	v_mul_f64 v[8:9], v[8:9], v[12:13]
	;; [unrolled: 2-line block ×159, first 2 shown]
	v_fma_f64 v[12:13], -s[2:3], v[10:11], v[2:3]
	s_add_i32 s4, s4, -1
	s_cmp_eq_u32 s4, 0
	v_mul_f64 v[10:11], v[10:11], v[12:13]
	s_cbranch_scc0 .LBB30_2
.LBB30_3:
	v_add_f64 v[2:3], v[4:5], v[8:9]
	v_add_f64 v[4:5], v[6:7], v[10:11]
	;; [unrolled: 1-line block ×3, first 2 shown]
	global_store_dwordx2 v[0:1], v[2:3], off
	s_endpgm
	.section	.rodata,"a",@progbits
	.p2align	6, 0x0
	.amdhsa_kernel _Z8MulMAdd4IdEvPT_iS0_S0_
		.amdhsa_group_segment_fixed_size 0
		.amdhsa_private_segment_fixed_size 0
		.amdhsa_kernarg_size 288
		.amdhsa_user_sgpr_count 2
		.amdhsa_user_sgpr_dispatch_ptr 0
		.amdhsa_user_sgpr_queue_ptr 0
		.amdhsa_user_sgpr_kernarg_segment_ptr 1
		.amdhsa_user_sgpr_dispatch_id 0
		.amdhsa_user_sgpr_kernarg_preload_length 0
		.amdhsa_user_sgpr_kernarg_preload_offset 0
		.amdhsa_user_sgpr_private_segment_size 0
		.amdhsa_uses_dynamic_stack 0
		.amdhsa_enable_private_segment 0
		.amdhsa_system_sgpr_workgroup_id_x 1
		.amdhsa_system_sgpr_workgroup_id_y 0
		.amdhsa_system_sgpr_workgroup_id_z 0
		.amdhsa_system_sgpr_workgroup_info 0
		.amdhsa_system_vgpr_workitem_id 0
		.amdhsa_next_free_vgpr 14
		.amdhsa_next_free_sgpr 8
		.amdhsa_accum_offset 16
		.amdhsa_reserve_vcc 0
		.amdhsa_float_round_mode_32 0
		.amdhsa_float_round_mode_16_64 0
		.amdhsa_float_denorm_mode_32 3
		.amdhsa_float_denorm_mode_16_64 3
		.amdhsa_dx10_clamp 1
		.amdhsa_ieee_mode 1
		.amdhsa_fp16_overflow 0
		.amdhsa_tg_split 0
		.amdhsa_exception_fp_ieee_invalid_op 0
		.amdhsa_exception_fp_denorm_src 0
		.amdhsa_exception_fp_ieee_div_zero 0
		.amdhsa_exception_fp_ieee_overflow 0
		.amdhsa_exception_fp_ieee_underflow 0
		.amdhsa_exception_fp_ieee_inexact 0
		.amdhsa_exception_int_div_zero 0
	.end_amdhsa_kernel
	.section	.text._Z8MulMAdd4IdEvPT_iS0_S0_,"axG",@progbits,_Z8MulMAdd4IdEvPT_iS0_S0_,comdat
.Lfunc_end30:
	.size	_Z8MulMAdd4IdEvPT_iS0_S0_, .Lfunc_end30-_Z8MulMAdd4IdEvPT_iS0_S0_
                                        ; -- End function
	.set _Z8MulMAdd4IdEvPT_iS0_S0_.num_vgpr, 14
	.set _Z8MulMAdd4IdEvPT_iS0_S0_.num_agpr, 0
	.set _Z8MulMAdd4IdEvPT_iS0_S0_.numbered_sgpr, 8
	.set _Z8MulMAdd4IdEvPT_iS0_S0_.num_named_barrier, 0
	.set _Z8MulMAdd4IdEvPT_iS0_S0_.private_seg_size, 0
	.set _Z8MulMAdd4IdEvPT_iS0_S0_.uses_vcc, 0
	.set _Z8MulMAdd4IdEvPT_iS0_S0_.uses_flat_scratch, 0
	.set _Z8MulMAdd4IdEvPT_iS0_S0_.has_dyn_sized_stack, 0
	.set _Z8MulMAdd4IdEvPT_iS0_S0_.has_recursion, 0
	.set _Z8MulMAdd4IdEvPT_iS0_S0_.has_indirect_call, 0
	.section	.AMDGPU.csdata,"",@progbits
; Kernel info:
; codeLenInByte = 2748
; TotalNumSgprs: 14
; NumVgprs: 14
; NumAgprs: 0
; TotalNumVgprs: 14
; ScratchSize: 0
; MemoryBound: 0
; FloatMode: 240
; IeeeMode: 1
; LDSByteSize: 0 bytes/workgroup (compile time only)
; SGPRBlocks: 1
; VGPRBlocks: 1
; NumSGPRsForWavesPerEU: 14
; NumVGPRsForWavesPerEU: 14
; AccumOffset: 16
; Occupancy: 8
; WaveLimiterHint : 0
; COMPUTE_PGM_RSRC2:SCRATCH_EN: 0
; COMPUTE_PGM_RSRC2:USER_SGPR: 2
; COMPUTE_PGM_RSRC2:TRAP_HANDLER: 0
; COMPUTE_PGM_RSRC2:TGID_X_EN: 1
; COMPUTE_PGM_RSRC2:TGID_Y_EN: 0
; COMPUTE_PGM_RSRC2:TGID_Z_EN: 0
; COMPUTE_PGM_RSRC2:TIDIG_COMP_CNT: 0
; COMPUTE_PGM_RSRC3_GFX90A:ACCUM_OFFSET: 3
; COMPUTE_PGM_RSRC3_GFX90A:TG_SPLIT: 0
	.section	.text._Z8MulMAdd8IdEvPT_iS0_S0_,"axG",@progbits,_Z8MulMAdd8IdEvPT_iS0_S0_,comdat
	.protected	_Z8MulMAdd8IdEvPT_iS0_S0_ ; -- Begin function _Z8MulMAdd8IdEvPT_iS0_S0_
	.globl	_Z8MulMAdd8IdEvPT_iS0_S0_
	.p2align	8
	.type	_Z8MulMAdd8IdEvPT_iS0_S0_,@function
_Z8MulMAdd8IdEvPT_iS0_S0_:              ; @_Z8MulMAdd8IdEvPT_iS0_S0_
; %bb.0:
	s_load_dword s3, s[0:1], 0x2c
	s_load_dwordx2 s[6:7], s[0:1], 0x0
	s_load_dword s4, s[0:1], 0x8
	s_mov_b32 s8, 0
	s_mov_b32 s10, 0
	s_waitcnt lgkmcnt(0)
	s_and_b32 s3, s3, 0xffff
	s_mul_i32 s2, s2, s3
	v_add_u32_e32 v0, s2, v0
	v_ashrrev_i32_e32 v1, 31, v0
	v_lshl_add_u64 v[0:1], v[0:1], 3, s[6:7]
	global_load_dwordx2 v[4:5], v[0:1], off
	s_mov_b32 s2, 0
	s_mov_b32 s3, 0x40240000
	;; [unrolled: 1-line block ×6, first 2 shown]
	s_cmp_lt_i32 s4, 1
	s_waitcnt vmcnt(0)
	v_add_f64 v[12:13], -v[4:5], s[2:3]
	v_add_f64 v[10:11], -v[4:5], s[6:7]
	;; [unrolled: 1-line block ×7, first 2 shown]
	s_cbranch_scc1 .LBB31_3
; %bb.1:
	s_load_dwordx4 s[0:3], s[0:1], 0x10
	s_waitcnt lgkmcnt(0)
	v_mov_b64_e32 v[2:3], s[0:1]
.LBB31_2:                               ; =>This Inner Loop Header: Depth=1
	v_fma_f64 v[20:21], -s[2:3], v[4:5], v[2:3]
	v_mul_f64 v[4:5], v[4:5], v[20:21]
	v_fma_f64 v[20:21], -s[2:3], v[12:13], v[2:3]
	v_mul_f64 v[12:13], v[12:13], v[20:21]
	;; [unrolled: 2-line block ×159, first 2 shown]
	v_fma_f64 v[20:21], -s[2:3], v[18:19], v[2:3]
	s_add_i32 s4, s4, -1
	s_cmp_eq_u32 s4, 0
	v_mul_f64 v[18:19], v[18:19], v[20:21]
	s_cbranch_scc0 .LBB31_2
.LBB31_3:
	v_add_f64 v[2:3], v[4:5], v[12:13]
	v_add_f64 v[4:5], v[10:11], v[16:17]
	;; [unrolled: 1-line block ×7, first 2 shown]
	global_store_dwordx2 v[0:1], v[2:3], off
	s_endpgm
	.section	.rodata,"a",@progbits
	.p2align	6, 0x0
	.amdhsa_kernel _Z8MulMAdd8IdEvPT_iS0_S0_
		.amdhsa_group_segment_fixed_size 0
		.amdhsa_private_segment_fixed_size 0
		.amdhsa_kernarg_size 288
		.amdhsa_user_sgpr_count 2
		.amdhsa_user_sgpr_dispatch_ptr 0
		.amdhsa_user_sgpr_queue_ptr 0
		.amdhsa_user_sgpr_kernarg_segment_ptr 1
		.amdhsa_user_sgpr_dispatch_id 0
		.amdhsa_user_sgpr_kernarg_preload_length 0
		.amdhsa_user_sgpr_kernarg_preload_offset 0
		.amdhsa_user_sgpr_private_segment_size 0
		.amdhsa_uses_dynamic_stack 0
		.amdhsa_enable_private_segment 0
		.amdhsa_system_sgpr_workgroup_id_x 1
		.amdhsa_system_sgpr_workgroup_id_y 0
		.amdhsa_system_sgpr_workgroup_id_z 0
		.amdhsa_system_sgpr_workgroup_info 0
		.amdhsa_system_vgpr_workitem_id 0
		.amdhsa_next_free_vgpr 22
		.amdhsa_next_free_sgpr 12
		.amdhsa_accum_offset 24
		.amdhsa_reserve_vcc 0
		.amdhsa_float_round_mode_32 0
		.amdhsa_float_round_mode_16_64 0
		.amdhsa_float_denorm_mode_32 3
		.amdhsa_float_denorm_mode_16_64 3
		.amdhsa_dx10_clamp 1
		.amdhsa_ieee_mode 1
		.amdhsa_fp16_overflow 0
		.amdhsa_tg_split 0
		.amdhsa_exception_fp_ieee_invalid_op 0
		.amdhsa_exception_fp_denorm_src 0
		.amdhsa_exception_fp_ieee_div_zero 0
		.amdhsa_exception_fp_ieee_overflow 0
		.amdhsa_exception_fp_ieee_underflow 0
		.amdhsa_exception_fp_ieee_inexact 0
		.amdhsa_exception_int_div_zero 0
	.end_amdhsa_kernel
	.section	.text._Z8MulMAdd8IdEvPT_iS0_S0_,"axG",@progbits,_Z8MulMAdd8IdEvPT_iS0_S0_,comdat
.Lfunc_end31:
	.size	_Z8MulMAdd8IdEvPT_iS0_S0_, .Lfunc_end31-_Z8MulMAdd8IdEvPT_iS0_S0_
                                        ; -- End function
	.set _Z8MulMAdd8IdEvPT_iS0_S0_.num_vgpr, 22
	.set _Z8MulMAdd8IdEvPT_iS0_S0_.num_agpr, 0
	.set _Z8MulMAdd8IdEvPT_iS0_S0_.numbered_sgpr, 12
	.set _Z8MulMAdd8IdEvPT_iS0_S0_.num_named_barrier, 0
	.set _Z8MulMAdd8IdEvPT_iS0_S0_.private_seg_size, 0
	.set _Z8MulMAdd8IdEvPT_iS0_S0_.uses_vcc, 0
	.set _Z8MulMAdd8IdEvPT_iS0_S0_.uses_flat_scratch, 0
	.set _Z8MulMAdd8IdEvPT_iS0_S0_.has_dyn_sized_stack, 0
	.set _Z8MulMAdd8IdEvPT_iS0_S0_.has_recursion, 0
	.set _Z8MulMAdd8IdEvPT_iS0_S0_.has_indirect_call, 0
	.section	.AMDGPU.csdata,"",@progbits
; Kernel info:
; codeLenInByte = 2836
; TotalNumSgprs: 18
; NumVgprs: 22
; NumAgprs: 0
; TotalNumVgprs: 22
; ScratchSize: 0
; MemoryBound: 0
; FloatMode: 240
; IeeeMode: 1
; LDSByteSize: 0 bytes/workgroup (compile time only)
; SGPRBlocks: 2
; VGPRBlocks: 2
; NumSGPRsForWavesPerEU: 18
; NumVGPRsForWavesPerEU: 22
; AccumOffset: 24
; Occupancy: 8
; WaveLimiterHint : 0
; COMPUTE_PGM_RSRC2:SCRATCH_EN: 0
; COMPUTE_PGM_RSRC2:USER_SGPR: 2
; COMPUTE_PGM_RSRC2:TRAP_HANDLER: 0
; COMPUTE_PGM_RSRC2:TGID_X_EN: 1
; COMPUTE_PGM_RSRC2:TGID_Y_EN: 0
; COMPUTE_PGM_RSRC2:TGID_Z_EN: 0
; COMPUTE_PGM_RSRC2:TIDIG_COMP_CNT: 0
; COMPUTE_PGM_RSRC3_GFX90A:ACCUM_OFFSET: 5
; COMPUTE_PGM_RSRC3_GFX90A:TG_SPLIT: 0
	.section	.AMDGPU.gpr_maximums,"",@progbits
	.set amdgpu.max_num_vgpr, 0
	.set amdgpu.max_num_agpr, 0
	.set amdgpu.max_num_sgpr, 0
	.section	.AMDGPU.csdata,"",@progbits
	.type	__hip_cuid_647be2152d363eeb,@object ; @__hip_cuid_647be2152d363eeb
	.section	.bss,"aw",@nobits
	.globl	__hip_cuid_647be2152d363eeb
__hip_cuid_647be2152d363eeb:
	.byte	0                               ; 0x0
	.size	__hip_cuid_647be2152d363eeb, 1

	.ident	"AMD clang version 22.0.0git (https://github.com/RadeonOpenCompute/llvm-project roc-7.2.4 26084 f58b06dce1f9c15707c5f808fd002e18c2accf7e)"
	.section	".note.GNU-stack","",@progbits
	.addrsig
	.addrsig_sym __hip_cuid_647be2152d363eeb
	.amdgpu_metadata
---
amdhsa.kernels:
  - .agpr_count:     0
    .args:
      - .address_space:  global
        .offset:         0
        .size:           8
        .value_kind:     global_buffer
      - .offset:         8
        .size:           4
        .value_kind:     by_value
      - .offset:         12
        .size:           4
        .value_kind:     by_value
      - .offset:         16
        .size:           4
        .value_kind:     hidden_block_count_x
      - .offset:         20
        .size:           4
        .value_kind:     hidden_block_count_y
      - .offset:         24
        .size:           4
        .value_kind:     hidden_block_count_z
      - .offset:         28
        .size:           2
        .value_kind:     hidden_group_size_x
      - .offset:         30
        .size:           2
        .value_kind:     hidden_group_size_y
      - .offset:         32
        .size:           2
        .value_kind:     hidden_group_size_z
      - .offset:         34
        .size:           2
        .value_kind:     hidden_remainder_x
      - .offset:         36
        .size:           2
        .value_kind:     hidden_remainder_y
      - .offset:         38
        .size:           2
        .value_kind:     hidden_remainder_z
      - .offset:         56
        .size:           8
        .value_kind:     hidden_global_offset_x
      - .offset:         64
        .size:           8
        .value_kind:     hidden_global_offset_y
      - .offset:         72
        .size:           8
        .value_kind:     hidden_global_offset_z
      - .offset:         80
        .size:           2
        .value_kind:     hidden_grid_dims
    .group_segment_fixed_size: 0
    .kernarg_segment_align: 8
    .kernarg_segment_size: 272
    .language:       OpenCL C
    .language_version:
      - 2
      - 0
    .max_flat_workgroup_size: 1024
    .name:           _Z4Add1IfEvPT_iS0_
    .private_segment_fixed_size: 0
    .sgpr_count:     14
    .sgpr_spill_count: 0
    .symbol:         _Z4Add1IfEvPT_iS0_.kd
    .uniform_work_group_size: 1
    .uses_dynamic_stack: false
    .vgpr_count:     3
    .vgpr_spill_count: 0
    .wavefront_size: 64
  - .agpr_count:     0
    .args:
      - .address_space:  global
        .offset:         0
        .size:           8
        .value_kind:     global_buffer
      - .offset:         8
        .size:           4
        .value_kind:     by_value
      - .offset:         12
        .size:           4
        .value_kind:     by_value
      - .offset:         16
        .size:           4
        .value_kind:     hidden_block_count_x
      - .offset:         20
        .size:           4
        .value_kind:     hidden_block_count_y
      - .offset:         24
        .size:           4
        .value_kind:     hidden_block_count_z
      - .offset:         28
        .size:           2
        .value_kind:     hidden_group_size_x
      - .offset:         30
        .size:           2
        .value_kind:     hidden_group_size_y
      - .offset:         32
        .size:           2
        .value_kind:     hidden_group_size_z
      - .offset:         34
        .size:           2
        .value_kind:     hidden_remainder_x
      - .offset:         36
        .size:           2
        .value_kind:     hidden_remainder_y
      - .offset:         38
        .size:           2
        .value_kind:     hidden_remainder_z
      - .offset:         56
        .size:           8
        .value_kind:     hidden_global_offset_x
      - .offset:         64
        .size:           8
        .value_kind:     hidden_global_offset_y
      - .offset:         72
        .size:           8
        .value_kind:     hidden_global_offset_z
      - .offset:         80
        .size:           2
        .value_kind:     hidden_grid_dims
    .group_segment_fixed_size: 0
    .kernarg_segment_align: 8
    .kernarg_segment_size: 272
    .language:       OpenCL C
    .language_version:
      - 2
      - 0
    .max_flat_workgroup_size: 1024
    .name:           _Z4Add2IfEvPT_iS0_
    .private_segment_fixed_size: 0
    .sgpr_count:     14
    .sgpr_spill_count: 0
    .symbol:         _Z4Add2IfEvPT_iS0_.kd
    .uniform_work_group_size: 1
    .uses_dynamic_stack: false
    .vgpr_count:     4
    .vgpr_spill_count: 0
    .wavefront_size: 64
  - .agpr_count:     0
    .args:
      - .address_space:  global
        .offset:         0
        .size:           8
        .value_kind:     global_buffer
      - .offset:         8
        .size:           4
        .value_kind:     by_value
      - .offset:         12
        .size:           4
        .value_kind:     by_value
      - .offset:         16
        .size:           4
        .value_kind:     hidden_block_count_x
      - .offset:         20
        .size:           4
        .value_kind:     hidden_block_count_y
      - .offset:         24
        .size:           4
        .value_kind:     hidden_block_count_z
      - .offset:         28
        .size:           2
        .value_kind:     hidden_group_size_x
      - .offset:         30
        .size:           2
        .value_kind:     hidden_group_size_y
      - .offset:         32
        .size:           2
        .value_kind:     hidden_group_size_z
      - .offset:         34
        .size:           2
        .value_kind:     hidden_remainder_x
      - .offset:         36
        .size:           2
        .value_kind:     hidden_remainder_y
      - .offset:         38
        .size:           2
        .value_kind:     hidden_remainder_z
      - .offset:         56
        .size:           8
        .value_kind:     hidden_global_offset_x
      - .offset:         64
        .size:           8
        .value_kind:     hidden_global_offset_y
      - .offset:         72
        .size:           8
        .value_kind:     hidden_global_offset_z
      - .offset:         80
        .size:           2
        .value_kind:     hidden_grid_dims
    .group_segment_fixed_size: 0
    .kernarg_segment_align: 8
    .kernarg_segment_size: 272
    .language:       OpenCL C
    .language_version:
      - 2
      - 0
    .max_flat_workgroup_size: 1024
    .name:           _Z4Add4IfEvPT_iS0_
    .private_segment_fixed_size: 0
    .sgpr_count:     14
    .sgpr_spill_count: 0
    .symbol:         _Z4Add4IfEvPT_iS0_.kd
    .uniform_work_group_size: 1
    .uses_dynamic_stack: false
    .vgpr_count:     6
    .vgpr_spill_count: 0
    .wavefront_size: 64
  - .agpr_count:     0
    .args:
      - .address_space:  global
        .offset:         0
        .size:           8
        .value_kind:     global_buffer
      - .offset:         8
        .size:           4
        .value_kind:     by_value
      - .offset:         12
        .size:           4
        .value_kind:     by_value
      - .offset:         16
        .size:           4
        .value_kind:     hidden_block_count_x
      - .offset:         20
        .size:           4
        .value_kind:     hidden_block_count_y
      - .offset:         24
        .size:           4
        .value_kind:     hidden_block_count_z
      - .offset:         28
        .size:           2
        .value_kind:     hidden_group_size_x
      - .offset:         30
        .size:           2
        .value_kind:     hidden_group_size_y
      - .offset:         32
        .size:           2
        .value_kind:     hidden_group_size_z
      - .offset:         34
        .size:           2
        .value_kind:     hidden_remainder_x
      - .offset:         36
        .size:           2
        .value_kind:     hidden_remainder_y
      - .offset:         38
        .size:           2
        .value_kind:     hidden_remainder_z
      - .offset:         56
        .size:           8
        .value_kind:     hidden_global_offset_x
      - .offset:         64
        .size:           8
        .value_kind:     hidden_global_offset_y
      - .offset:         72
        .size:           8
        .value_kind:     hidden_global_offset_z
      - .offset:         80
        .size:           2
        .value_kind:     hidden_grid_dims
    .group_segment_fixed_size: 0
    .kernarg_segment_align: 8
    .kernarg_segment_size: 272
    .language:       OpenCL C
    .language_version:
      - 2
      - 0
    .max_flat_workgroup_size: 1024
    .name:           _Z4Add8IfEvPT_iS0_
    .private_segment_fixed_size: 0
    .sgpr_count:     14
    .sgpr_spill_count: 0
    .symbol:         _Z4Add8IfEvPT_iS0_.kd
    .uniform_work_group_size: 1
    .uses_dynamic_stack: false
    .vgpr_count:     12
    .vgpr_spill_count: 0
    .wavefront_size: 64
  - .agpr_count:     0
    .args:
      - .address_space:  global
        .offset:         0
        .size:           8
        .value_kind:     global_buffer
      - .offset:         8
        .size:           4
        .value_kind:     by_value
      - .offset:         12
        .size:           4
        .value_kind:     by_value
      - .offset:         16
        .size:           4
        .value_kind:     hidden_block_count_x
      - .offset:         20
        .size:           4
        .value_kind:     hidden_block_count_y
      - .offset:         24
        .size:           4
        .value_kind:     hidden_block_count_z
      - .offset:         28
        .size:           2
        .value_kind:     hidden_group_size_x
      - .offset:         30
        .size:           2
        .value_kind:     hidden_group_size_y
      - .offset:         32
        .size:           2
        .value_kind:     hidden_group_size_z
      - .offset:         34
        .size:           2
        .value_kind:     hidden_remainder_x
      - .offset:         36
        .size:           2
        .value_kind:     hidden_remainder_y
      - .offset:         38
        .size:           2
        .value_kind:     hidden_remainder_z
      - .offset:         56
        .size:           8
        .value_kind:     hidden_global_offset_x
      - .offset:         64
        .size:           8
        .value_kind:     hidden_global_offset_y
      - .offset:         72
        .size:           8
        .value_kind:     hidden_global_offset_z
      - .offset:         80
        .size:           2
        .value_kind:     hidden_grid_dims
    .group_segment_fixed_size: 0
    .kernarg_segment_align: 8
    .kernarg_segment_size: 272
    .language:       OpenCL C
    .language_version:
      - 2
      - 0
    .max_flat_workgroup_size: 1024
    .name:           _Z4Mul1IfEvPT_iS0_
    .private_segment_fixed_size: 0
    .sgpr_count:     14
    .sgpr_spill_count: 0
    .symbol:         _Z4Mul1IfEvPT_iS0_.kd
    .uniform_work_group_size: 1
    .uses_dynamic_stack: false
    .vgpr_count:     3
    .vgpr_spill_count: 0
    .wavefront_size: 64
  - .agpr_count:     0
    .args:
      - .address_space:  global
        .offset:         0
        .size:           8
        .value_kind:     global_buffer
      - .offset:         8
        .size:           4
        .value_kind:     by_value
      - .offset:         12
        .size:           4
        .value_kind:     by_value
      - .offset:         16
        .size:           4
        .value_kind:     hidden_block_count_x
      - .offset:         20
        .size:           4
        .value_kind:     hidden_block_count_y
      - .offset:         24
        .size:           4
        .value_kind:     hidden_block_count_z
      - .offset:         28
        .size:           2
        .value_kind:     hidden_group_size_x
      - .offset:         30
        .size:           2
        .value_kind:     hidden_group_size_y
      - .offset:         32
        .size:           2
        .value_kind:     hidden_group_size_z
      - .offset:         34
        .size:           2
        .value_kind:     hidden_remainder_x
      - .offset:         36
        .size:           2
        .value_kind:     hidden_remainder_y
      - .offset:         38
        .size:           2
        .value_kind:     hidden_remainder_z
      - .offset:         56
        .size:           8
        .value_kind:     hidden_global_offset_x
      - .offset:         64
        .size:           8
        .value_kind:     hidden_global_offset_y
      - .offset:         72
        .size:           8
        .value_kind:     hidden_global_offset_z
      - .offset:         80
        .size:           2
        .value_kind:     hidden_grid_dims
    .group_segment_fixed_size: 0
    .kernarg_segment_align: 8
    .kernarg_segment_size: 272
    .language:       OpenCL C
    .language_version:
      - 2
      - 0
    .max_flat_workgroup_size: 1024
    .name:           _Z4Mul2IfEvPT_iS0_
    .private_segment_fixed_size: 0
    .sgpr_count:     14
    .sgpr_spill_count: 0
    .symbol:         _Z4Mul2IfEvPT_iS0_.kd
    .uniform_work_group_size: 1
    .uses_dynamic_stack: false
    .vgpr_count:     4
    .vgpr_spill_count: 0
    .wavefront_size: 64
  - .agpr_count:     0
    .args:
      - .address_space:  global
        .offset:         0
        .size:           8
        .value_kind:     global_buffer
      - .offset:         8
        .size:           4
        .value_kind:     by_value
      - .offset:         12
        .size:           4
        .value_kind:     by_value
      - .offset:         16
        .size:           4
        .value_kind:     hidden_block_count_x
      - .offset:         20
        .size:           4
        .value_kind:     hidden_block_count_y
      - .offset:         24
        .size:           4
        .value_kind:     hidden_block_count_z
      - .offset:         28
        .size:           2
        .value_kind:     hidden_group_size_x
      - .offset:         30
        .size:           2
        .value_kind:     hidden_group_size_y
      - .offset:         32
        .size:           2
        .value_kind:     hidden_group_size_z
      - .offset:         34
        .size:           2
        .value_kind:     hidden_remainder_x
      - .offset:         36
        .size:           2
        .value_kind:     hidden_remainder_y
      - .offset:         38
        .size:           2
        .value_kind:     hidden_remainder_z
      - .offset:         56
        .size:           8
        .value_kind:     hidden_global_offset_x
      - .offset:         64
        .size:           8
        .value_kind:     hidden_global_offset_y
      - .offset:         72
        .size:           8
        .value_kind:     hidden_global_offset_z
      - .offset:         80
        .size:           2
        .value_kind:     hidden_grid_dims
    .group_segment_fixed_size: 0
    .kernarg_segment_align: 8
    .kernarg_segment_size: 272
    .language:       OpenCL C
    .language_version:
      - 2
      - 0
    .max_flat_workgroup_size: 1024
    .name:           _Z4Mul4IfEvPT_iS0_
    .private_segment_fixed_size: 0
    .sgpr_count:     14
    .sgpr_spill_count: 0
    .symbol:         _Z4Mul4IfEvPT_iS0_.kd
    .uniform_work_group_size: 1
    .uses_dynamic_stack: false
    .vgpr_count:     8
    .vgpr_spill_count: 0
    .wavefront_size: 64
  - .agpr_count:     0
    .args:
      - .address_space:  global
        .offset:         0
        .size:           8
        .value_kind:     global_buffer
      - .offset:         8
        .size:           4
        .value_kind:     by_value
      - .offset:         12
        .size:           4
        .value_kind:     by_value
      - .offset:         16
        .size:           4
        .value_kind:     hidden_block_count_x
      - .offset:         20
        .size:           4
        .value_kind:     hidden_block_count_y
      - .offset:         24
        .size:           4
        .value_kind:     hidden_block_count_z
      - .offset:         28
        .size:           2
        .value_kind:     hidden_group_size_x
      - .offset:         30
        .size:           2
        .value_kind:     hidden_group_size_y
      - .offset:         32
        .size:           2
        .value_kind:     hidden_group_size_z
      - .offset:         34
        .size:           2
        .value_kind:     hidden_remainder_x
      - .offset:         36
        .size:           2
        .value_kind:     hidden_remainder_y
      - .offset:         38
        .size:           2
        .value_kind:     hidden_remainder_z
      - .offset:         56
        .size:           8
        .value_kind:     hidden_global_offset_x
      - .offset:         64
        .size:           8
        .value_kind:     hidden_global_offset_y
      - .offset:         72
        .size:           8
        .value_kind:     hidden_global_offset_z
      - .offset:         80
        .size:           2
        .value_kind:     hidden_grid_dims
    .group_segment_fixed_size: 0
    .kernarg_segment_align: 8
    .kernarg_segment_size: 272
    .language:       OpenCL C
    .language_version:
      - 2
      - 0
    .max_flat_workgroup_size: 1024
    .name:           _Z4Mul8IfEvPT_iS0_
    .private_segment_fixed_size: 0
    .sgpr_count:     14
    .sgpr_spill_count: 0
    .symbol:         _Z4Mul8IfEvPT_iS0_.kd
    .uniform_work_group_size: 1
    .uses_dynamic_stack: false
    .vgpr_count:     12
    .vgpr_spill_count: 0
    .wavefront_size: 64
  - .agpr_count:     0
    .args:
      - .address_space:  global
        .offset:         0
        .size:           8
        .value_kind:     global_buffer
      - .offset:         8
        .size:           4
        .value_kind:     by_value
      - .offset:         12
        .size:           4
        .value_kind:     by_value
      - .offset:         16
        .size:           4
        .value_kind:     by_value
      - .offset:         24
        .size:           4
        .value_kind:     hidden_block_count_x
      - .offset:         28
        .size:           4
        .value_kind:     hidden_block_count_y
      - .offset:         32
        .size:           4
        .value_kind:     hidden_block_count_z
      - .offset:         36
        .size:           2
        .value_kind:     hidden_group_size_x
      - .offset:         38
        .size:           2
        .value_kind:     hidden_group_size_y
      - .offset:         40
        .size:           2
        .value_kind:     hidden_group_size_z
      - .offset:         42
        .size:           2
        .value_kind:     hidden_remainder_x
      - .offset:         44
        .size:           2
        .value_kind:     hidden_remainder_y
      - .offset:         46
        .size:           2
        .value_kind:     hidden_remainder_z
      - .offset:         64
        .size:           8
        .value_kind:     hidden_global_offset_x
      - .offset:         72
        .size:           8
        .value_kind:     hidden_global_offset_y
      - .offset:         80
        .size:           8
        .value_kind:     hidden_global_offset_z
      - .offset:         88
        .size:           2
        .value_kind:     hidden_grid_dims
    .group_segment_fixed_size: 0
    .kernarg_segment_align: 8
    .kernarg_segment_size: 280
    .language:       OpenCL C
    .language_version:
      - 2
      - 0
    .max_flat_workgroup_size: 1024
    .name:           _Z5MAdd1IfEvPT_iS0_S0_
    .private_segment_fixed_size: 0
    .sgpr_count:     16
    .sgpr_spill_count: 0
    .symbol:         _Z5MAdd1IfEvPT_iS0_S0_.kd
    .uniform_work_group_size: 1
    .uses_dynamic_stack: false
    .vgpr_count:     4
    .vgpr_spill_count: 0
    .wavefront_size: 64
  - .agpr_count:     0
    .args:
      - .address_space:  global
        .offset:         0
        .size:           8
        .value_kind:     global_buffer
      - .offset:         8
        .size:           4
        .value_kind:     by_value
      - .offset:         12
        .size:           4
        .value_kind:     by_value
      - .offset:         16
        .size:           4
        .value_kind:     by_value
      - .offset:         24
        .size:           4
        .value_kind:     hidden_block_count_x
      - .offset:         28
        .size:           4
        .value_kind:     hidden_block_count_y
      - .offset:         32
        .size:           4
        .value_kind:     hidden_block_count_z
      - .offset:         36
        .size:           2
        .value_kind:     hidden_group_size_x
      - .offset:         38
        .size:           2
        .value_kind:     hidden_group_size_y
      - .offset:         40
        .size:           2
        .value_kind:     hidden_group_size_z
      - .offset:         42
        .size:           2
        .value_kind:     hidden_remainder_x
      - .offset:         44
        .size:           2
        .value_kind:     hidden_remainder_y
      - .offset:         46
        .size:           2
        .value_kind:     hidden_remainder_z
      - .offset:         64
        .size:           8
        .value_kind:     hidden_global_offset_x
      - .offset:         72
        .size:           8
        .value_kind:     hidden_global_offset_y
      - .offset:         80
        .size:           8
        .value_kind:     hidden_global_offset_z
      - .offset:         88
        .size:           2
        .value_kind:     hidden_grid_dims
    .group_segment_fixed_size: 0
    .kernarg_segment_align: 8
    .kernarg_segment_size: 280
    .language:       OpenCL C
    .language_version:
      - 2
      - 0
    .max_flat_workgroup_size: 1024
    .name:           _Z5MAdd2IfEvPT_iS0_S0_
    .private_segment_fixed_size: 0
    .sgpr_count:     16
    .sgpr_spill_count: 0
    .symbol:         _Z5MAdd2IfEvPT_iS0_S0_.kd
    .uniform_work_group_size: 1
    .uses_dynamic_stack: false
    .vgpr_count:     6
    .vgpr_spill_count: 0
    .wavefront_size: 64
  - .agpr_count:     0
    .args:
      - .address_space:  global
        .offset:         0
        .size:           8
        .value_kind:     global_buffer
      - .offset:         8
        .size:           4
        .value_kind:     by_value
      - .offset:         12
        .size:           4
        .value_kind:     by_value
      - .offset:         16
        .size:           4
        .value_kind:     by_value
      - .offset:         24
        .size:           4
        .value_kind:     hidden_block_count_x
      - .offset:         28
        .size:           4
        .value_kind:     hidden_block_count_y
      - .offset:         32
        .size:           4
        .value_kind:     hidden_block_count_z
      - .offset:         36
        .size:           2
        .value_kind:     hidden_group_size_x
      - .offset:         38
        .size:           2
        .value_kind:     hidden_group_size_y
      - .offset:         40
        .size:           2
        .value_kind:     hidden_group_size_z
      - .offset:         42
        .size:           2
        .value_kind:     hidden_remainder_x
      - .offset:         44
        .size:           2
        .value_kind:     hidden_remainder_y
      - .offset:         46
        .size:           2
        .value_kind:     hidden_remainder_z
      - .offset:         64
        .size:           8
        .value_kind:     hidden_global_offset_x
      - .offset:         72
        .size:           8
        .value_kind:     hidden_global_offset_y
      - .offset:         80
        .size:           8
        .value_kind:     hidden_global_offset_z
      - .offset:         88
        .size:           2
        .value_kind:     hidden_grid_dims
    .group_segment_fixed_size: 0
    .kernarg_segment_align: 8
    .kernarg_segment_size: 280
    .language:       OpenCL C
    .language_version:
      - 2
      - 0
    .max_flat_workgroup_size: 1024
    .name:           _Z5MAdd4IfEvPT_iS0_S0_
    .private_segment_fixed_size: 0
    .sgpr_count:     16
    .sgpr_spill_count: 0
    .symbol:         _Z5MAdd4IfEvPT_iS0_S0_.kd
    .uniform_work_group_size: 1
    .uses_dynamic_stack: false
    .vgpr_count:     8
    .vgpr_spill_count: 0
    .wavefront_size: 64
  - .agpr_count:     0
    .args:
      - .address_space:  global
        .offset:         0
        .size:           8
        .value_kind:     global_buffer
      - .offset:         8
        .size:           4
        .value_kind:     by_value
      - .offset:         12
        .size:           4
        .value_kind:     by_value
      - .offset:         16
        .size:           4
        .value_kind:     by_value
      - .offset:         24
        .size:           4
        .value_kind:     hidden_block_count_x
      - .offset:         28
        .size:           4
        .value_kind:     hidden_block_count_y
      - .offset:         32
        .size:           4
        .value_kind:     hidden_block_count_z
      - .offset:         36
        .size:           2
        .value_kind:     hidden_group_size_x
      - .offset:         38
        .size:           2
        .value_kind:     hidden_group_size_y
      - .offset:         40
        .size:           2
        .value_kind:     hidden_group_size_z
      - .offset:         42
        .size:           2
        .value_kind:     hidden_remainder_x
      - .offset:         44
        .size:           2
        .value_kind:     hidden_remainder_y
      - .offset:         46
        .size:           2
        .value_kind:     hidden_remainder_z
      - .offset:         64
        .size:           8
        .value_kind:     hidden_global_offset_x
      - .offset:         72
        .size:           8
        .value_kind:     hidden_global_offset_y
      - .offset:         80
        .size:           8
        .value_kind:     hidden_global_offset_z
      - .offset:         88
        .size:           2
        .value_kind:     hidden_grid_dims
    .group_segment_fixed_size: 0
    .kernarg_segment_align: 8
    .kernarg_segment_size: 280
    .language:       OpenCL C
    .language_version:
      - 2
      - 0
    .max_flat_workgroup_size: 1024
    .name:           _Z5MAdd8IfEvPT_iS0_S0_
    .private_segment_fixed_size: 0
    .sgpr_count:     16
    .sgpr_spill_count: 0
    .symbol:         _Z5MAdd8IfEvPT_iS0_S0_.kd
    .uniform_work_group_size: 1
    .uses_dynamic_stack: false
    .vgpr_count:     12
    .vgpr_spill_count: 0
    .wavefront_size: 64
  - .agpr_count:     0
    .args:
      - .address_space:  global
        .offset:         0
        .size:           8
        .value_kind:     global_buffer
      - .offset:         8
        .size:           4
        .value_kind:     by_value
      - .offset:         12
        .size:           4
        .value_kind:     by_value
      - .offset:         16
        .size:           4
        .value_kind:     by_value
      - .offset:         24
        .size:           4
        .value_kind:     hidden_block_count_x
      - .offset:         28
        .size:           4
        .value_kind:     hidden_block_count_y
      - .offset:         32
        .size:           4
        .value_kind:     hidden_block_count_z
      - .offset:         36
        .size:           2
        .value_kind:     hidden_group_size_x
      - .offset:         38
        .size:           2
        .value_kind:     hidden_group_size_y
      - .offset:         40
        .size:           2
        .value_kind:     hidden_group_size_z
      - .offset:         42
        .size:           2
        .value_kind:     hidden_remainder_x
      - .offset:         44
        .size:           2
        .value_kind:     hidden_remainder_y
      - .offset:         46
        .size:           2
        .value_kind:     hidden_remainder_z
      - .offset:         64
        .size:           8
        .value_kind:     hidden_global_offset_x
      - .offset:         72
        .size:           8
        .value_kind:     hidden_global_offset_y
      - .offset:         80
        .size:           8
        .value_kind:     hidden_global_offset_z
      - .offset:         88
        .size:           2
        .value_kind:     hidden_grid_dims
    .group_segment_fixed_size: 0
    .kernarg_segment_align: 8
    .kernarg_segment_size: 280
    .language:       OpenCL C
    .language_version:
      - 2
      - 0
    .max_flat_workgroup_size: 1024
    .name:           _Z8MulMAdd1IfEvPT_iS0_S0_
    .private_segment_fixed_size: 0
    .sgpr_count:     16
    .sgpr_spill_count: 0
    .symbol:         _Z8MulMAdd1IfEvPT_iS0_S0_.kd
    .uniform_work_group_size: 1
    .uses_dynamic_stack: false
    .vgpr_count:     5
    .vgpr_spill_count: 0
    .wavefront_size: 64
  - .agpr_count:     0
    .args:
      - .address_space:  global
        .offset:         0
        .size:           8
        .value_kind:     global_buffer
      - .offset:         8
        .size:           4
        .value_kind:     by_value
      - .offset:         12
        .size:           4
        .value_kind:     by_value
      - .offset:         16
        .size:           4
        .value_kind:     by_value
      - .offset:         24
        .size:           4
        .value_kind:     hidden_block_count_x
      - .offset:         28
        .size:           4
        .value_kind:     hidden_block_count_y
      - .offset:         32
        .size:           4
        .value_kind:     hidden_block_count_z
      - .offset:         36
        .size:           2
        .value_kind:     hidden_group_size_x
      - .offset:         38
        .size:           2
        .value_kind:     hidden_group_size_y
      - .offset:         40
        .size:           2
        .value_kind:     hidden_group_size_z
      - .offset:         42
        .size:           2
        .value_kind:     hidden_remainder_x
      - .offset:         44
        .size:           2
        .value_kind:     hidden_remainder_y
      - .offset:         46
        .size:           2
        .value_kind:     hidden_remainder_z
      - .offset:         64
        .size:           8
        .value_kind:     hidden_global_offset_x
      - .offset:         72
        .size:           8
        .value_kind:     hidden_global_offset_y
      - .offset:         80
        .size:           8
        .value_kind:     hidden_global_offset_z
      - .offset:         88
        .size:           2
        .value_kind:     hidden_grid_dims
    .group_segment_fixed_size: 0
    .kernarg_segment_align: 8
    .kernarg_segment_size: 280
    .language:       OpenCL C
    .language_version:
      - 2
      - 0
    .max_flat_workgroup_size: 1024
    .name:           _Z8MulMAdd2IfEvPT_iS0_S0_
    .private_segment_fixed_size: 0
    .sgpr_count:     16
    .sgpr_spill_count: 0
    .symbol:         _Z8MulMAdd2IfEvPT_iS0_S0_.kd
    .uniform_work_group_size: 1
    .uses_dynamic_stack: false
    .vgpr_count:     8
    .vgpr_spill_count: 0
    .wavefront_size: 64
  - .agpr_count:     0
    .args:
      - .address_space:  global
        .offset:         0
        .size:           8
        .value_kind:     global_buffer
      - .offset:         8
        .size:           4
        .value_kind:     by_value
      - .offset:         12
        .size:           4
        .value_kind:     by_value
      - .offset:         16
        .size:           4
        .value_kind:     by_value
      - .offset:         24
        .size:           4
        .value_kind:     hidden_block_count_x
      - .offset:         28
        .size:           4
        .value_kind:     hidden_block_count_y
      - .offset:         32
        .size:           4
        .value_kind:     hidden_block_count_z
      - .offset:         36
        .size:           2
        .value_kind:     hidden_group_size_x
      - .offset:         38
        .size:           2
        .value_kind:     hidden_group_size_y
      - .offset:         40
        .size:           2
        .value_kind:     hidden_group_size_z
      - .offset:         42
        .size:           2
        .value_kind:     hidden_remainder_x
      - .offset:         44
        .size:           2
        .value_kind:     hidden_remainder_y
      - .offset:         46
        .size:           2
        .value_kind:     hidden_remainder_z
      - .offset:         64
        .size:           8
        .value_kind:     hidden_global_offset_x
      - .offset:         72
        .size:           8
        .value_kind:     hidden_global_offset_y
      - .offset:         80
        .size:           8
        .value_kind:     hidden_global_offset_z
      - .offset:         88
        .size:           2
        .value_kind:     hidden_grid_dims
    .group_segment_fixed_size: 0
    .kernarg_segment_align: 8
    .kernarg_segment_size: 280
    .language:       OpenCL C
    .language_version:
      - 2
      - 0
    .max_flat_workgroup_size: 1024
    .name:           _Z8MulMAdd4IfEvPT_iS0_S0_
    .private_segment_fixed_size: 0
    .sgpr_count:     16
    .sgpr_spill_count: 0
    .symbol:         _Z8MulMAdd4IfEvPT_iS0_S0_.kd
    .uniform_work_group_size: 1
    .uses_dynamic_stack: false
    .vgpr_count:     12
    .vgpr_spill_count: 0
    .wavefront_size: 64
  - .agpr_count:     0
    .args:
      - .address_space:  global
        .offset:         0
        .size:           8
        .value_kind:     global_buffer
      - .offset:         8
        .size:           4
        .value_kind:     by_value
      - .offset:         12
        .size:           4
        .value_kind:     by_value
      - .offset:         16
        .size:           4
        .value_kind:     by_value
      - .offset:         24
        .size:           4
        .value_kind:     hidden_block_count_x
      - .offset:         28
        .size:           4
        .value_kind:     hidden_block_count_y
      - .offset:         32
        .size:           4
        .value_kind:     hidden_block_count_z
      - .offset:         36
        .size:           2
        .value_kind:     hidden_group_size_x
      - .offset:         38
        .size:           2
        .value_kind:     hidden_group_size_y
      - .offset:         40
        .size:           2
        .value_kind:     hidden_group_size_z
      - .offset:         42
        .size:           2
        .value_kind:     hidden_remainder_x
      - .offset:         44
        .size:           2
        .value_kind:     hidden_remainder_y
      - .offset:         46
        .size:           2
        .value_kind:     hidden_remainder_z
      - .offset:         64
        .size:           8
        .value_kind:     hidden_global_offset_x
      - .offset:         72
        .size:           8
        .value_kind:     hidden_global_offset_y
      - .offset:         80
        .size:           8
        .value_kind:     hidden_global_offset_z
      - .offset:         88
        .size:           2
        .value_kind:     hidden_grid_dims
    .group_segment_fixed_size: 0
    .kernarg_segment_align: 8
    .kernarg_segment_size: 280
    .language:       OpenCL C
    .language_version:
      - 2
      - 0
    .max_flat_workgroup_size: 1024
    .name:           _Z8MulMAdd8IfEvPT_iS0_S0_
    .private_segment_fixed_size: 0
    .sgpr_count:     16
    .sgpr_spill_count: 0
    .symbol:         _Z8MulMAdd8IfEvPT_iS0_S0_.kd
    .uniform_work_group_size: 1
    .uses_dynamic_stack: false
    .vgpr_count:     20
    .vgpr_spill_count: 0
    .wavefront_size: 64
  - .agpr_count:     0
    .args:
      - .address_space:  global
        .offset:         0
        .size:           8
        .value_kind:     global_buffer
      - .offset:         8
        .size:           4
        .value_kind:     by_value
      - .offset:         16
        .size:           8
        .value_kind:     by_value
      - .offset:         24
        .size:           4
        .value_kind:     hidden_block_count_x
      - .offset:         28
        .size:           4
        .value_kind:     hidden_block_count_y
      - .offset:         32
        .size:           4
        .value_kind:     hidden_block_count_z
      - .offset:         36
        .size:           2
        .value_kind:     hidden_group_size_x
      - .offset:         38
        .size:           2
        .value_kind:     hidden_group_size_y
      - .offset:         40
        .size:           2
        .value_kind:     hidden_group_size_z
      - .offset:         42
        .size:           2
        .value_kind:     hidden_remainder_x
      - .offset:         44
        .size:           2
        .value_kind:     hidden_remainder_y
      - .offset:         46
        .size:           2
        .value_kind:     hidden_remainder_z
      - .offset:         64
        .size:           8
        .value_kind:     hidden_global_offset_x
      - .offset:         72
        .size:           8
        .value_kind:     hidden_global_offset_y
      - .offset:         80
        .size:           8
        .value_kind:     hidden_global_offset_z
      - .offset:         88
        .size:           2
        .value_kind:     hidden_grid_dims
    .group_segment_fixed_size: 0
    .kernarg_segment_align: 8
    .kernarg_segment_size: 280
    .language:       OpenCL C
    .language_version:
      - 2
      - 0
    .max_flat_workgroup_size: 1024
    .name:           _Z4Add1IdEvPT_iS0_
    .private_segment_fixed_size: 0
    .sgpr_count:     13
    .sgpr_spill_count: 0
    .symbol:         _Z4Add1IdEvPT_iS0_.kd
    .uniform_work_group_size: 1
    .uses_dynamic_stack: false
    .vgpr_count:     4
    .vgpr_spill_count: 0
    .wavefront_size: 64
  - .agpr_count:     0
    .args:
      - .address_space:  global
        .offset:         0
        .size:           8
        .value_kind:     global_buffer
      - .offset:         8
        .size:           4
        .value_kind:     by_value
      - .offset:         16
        .size:           8
        .value_kind:     by_value
      - .offset:         24
        .size:           4
        .value_kind:     hidden_block_count_x
      - .offset:         28
        .size:           4
        .value_kind:     hidden_block_count_y
      - .offset:         32
        .size:           4
        .value_kind:     hidden_block_count_z
      - .offset:         36
        .size:           2
        .value_kind:     hidden_group_size_x
      - .offset:         38
        .size:           2
        .value_kind:     hidden_group_size_y
      - .offset:         40
        .size:           2
        .value_kind:     hidden_group_size_z
      - .offset:         42
        .size:           2
        .value_kind:     hidden_remainder_x
      - .offset:         44
        .size:           2
        .value_kind:     hidden_remainder_y
      - .offset:         46
        .size:           2
        .value_kind:     hidden_remainder_z
      - .offset:         64
        .size:           8
        .value_kind:     hidden_global_offset_x
      - .offset:         72
        .size:           8
        .value_kind:     hidden_global_offset_y
      - .offset:         80
        .size:           8
        .value_kind:     hidden_global_offset_z
      - .offset:         88
        .size:           2
        .value_kind:     hidden_grid_dims
    .group_segment_fixed_size: 0
    .kernarg_segment_align: 8
    .kernarg_segment_size: 280
    .language:       OpenCL C
    .language_version:
      - 2
      - 0
    .max_flat_workgroup_size: 1024
    .name:           _Z4Add2IdEvPT_iS0_
    .private_segment_fixed_size: 0
    .sgpr_count:     13
    .sgpr_spill_count: 0
    .symbol:         _Z4Add2IdEvPT_iS0_.kd
    .uniform_work_group_size: 1
    .uses_dynamic_stack: false
    .vgpr_count:     6
    .vgpr_spill_count: 0
    .wavefront_size: 64
  - .agpr_count:     0
    .args:
      - .address_space:  global
        .offset:         0
        .size:           8
        .value_kind:     global_buffer
      - .offset:         8
        .size:           4
        .value_kind:     by_value
      - .offset:         16
        .size:           8
        .value_kind:     by_value
      - .offset:         24
        .size:           4
        .value_kind:     hidden_block_count_x
      - .offset:         28
        .size:           4
        .value_kind:     hidden_block_count_y
      - .offset:         32
        .size:           4
        .value_kind:     hidden_block_count_z
      - .offset:         36
        .size:           2
        .value_kind:     hidden_group_size_x
      - .offset:         38
        .size:           2
        .value_kind:     hidden_group_size_y
      - .offset:         40
        .size:           2
        .value_kind:     hidden_group_size_z
      - .offset:         42
        .size:           2
        .value_kind:     hidden_remainder_x
      - .offset:         44
        .size:           2
        .value_kind:     hidden_remainder_y
      - .offset:         46
        .size:           2
        .value_kind:     hidden_remainder_z
      - .offset:         64
        .size:           8
        .value_kind:     hidden_global_offset_x
      - .offset:         72
        .size:           8
        .value_kind:     hidden_global_offset_y
      - .offset:         80
        .size:           8
        .value_kind:     hidden_global_offset_z
      - .offset:         88
        .size:           2
        .value_kind:     hidden_grid_dims
    .group_segment_fixed_size: 0
    .kernarg_segment_align: 8
    .kernarg_segment_size: 280
    .language:       OpenCL C
    .language_version:
      - 2
      - 0
    .max_flat_workgroup_size: 1024
    .name:           _Z4Add4IdEvPT_iS0_
    .private_segment_fixed_size: 0
    .sgpr_count:     14
    .sgpr_spill_count: 0
    .symbol:         _Z4Add4IdEvPT_iS0_.kd
    .uniform_work_group_size: 1
    .uses_dynamic_stack: false
    .vgpr_count:     10
    .vgpr_spill_count: 0
    .wavefront_size: 64
  - .agpr_count:     0
    .args:
      - .address_space:  global
        .offset:         0
        .size:           8
        .value_kind:     global_buffer
      - .offset:         8
        .size:           4
        .value_kind:     by_value
      - .offset:         16
        .size:           8
        .value_kind:     by_value
      - .offset:         24
        .size:           4
        .value_kind:     hidden_block_count_x
      - .offset:         28
        .size:           4
        .value_kind:     hidden_block_count_y
      - .offset:         32
        .size:           4
        .value_kind:     hidden_block_count_z
      - .offset:         36
        .size:           2
        .value_kind:     hidden_group_size_x
      - .offset:         38
        .size:           2
        .value_kind:     hidden_group_size_y
      - .offset:         40
        .size:           2
        .value_kind:     hidden_group_size_z
      - .offset:         42
        .size:           2
        .value_kind:     hidden_remainder_x
      - .offset:         44
        .size:           2
        .value_kind:     hidden_remainder_y
      - .offset:         46
        .size:           2
        .value_kind:     hidden_remainder_z
      - .offset:         64
        .size:           8
        .value_kind:     hidden_global_offset_x
      - .offset:         72
        .size:           8
        .value_kind:     hidden_global_offset_y
      - .offset:         80
        .size:           8
        .value_kind:     hidden_global_offset_z
      - .offset:         88
        .size:           2
        .value_kind:     hidden_grid_dims
    .group_segment_fixed_size: 0
    .kernarg_segment_align: 8
    .kernarg_segment_size: 280
    .language:       OpenCL C
    .language_version:
      - 2
      - 0
    .max_flat_workgroup_size: 1024
    .name:           _Z4Add8IdEvPT_iS0_
    .private_segment_fixed_size: 0
    .sgpr_count:     18
    .sgpr_spill_count: 0
    .symbol:         _Z4Add8IdEvPT_iS0_.kd
    .uniform_work_group_size: 1
    .uses_dynamic_stack: false
    .vgpr_count:     18
    .vgpr_spill_count: 0
    .wavefront_size: 64
  - .agpr_count:     0
    .args:
      - .address_space:  global
        .offset:         0
        .size:           8
        .value_kind:     global_buffer
      - .offset:         8
        .size:           4
        .value_kind:     by_value
      - .offset:         16
        .size:           8
        .value_kind:     by_value
      - .offset:         24
        .size:           4
        .value_kind:     hidden_block_count_x
      - .offset:         28
        .size:           4
        .value_kind:     hidden_block_count_y
      - .offset:         32
        .size:           4
        .value_kind:     hidden_block_count_z
      - .offset:         36
        .size:           2
        .value_kind:     hidden_group_size_x
      - .offset:         38
        .size:           2
        .value_kind:     hidden_group_size_y
      - .offset:         40
        .size:           2
        .value_kind:     hidden_group_size_z
      - .offset:         42
        .size:           2
        .value_kind:     hidden_remainder_x
      - .offset:         44
        .size:           2
        .value_kind:     hidden_remainder_y
      - .offset:         46
        .size:           2
        .value_kind:     hidden_remainder_z
      - .offset:         64
        .size:           8
        .value_kind:     hidden_global_offset_x
      - .offset:         72
        .size:           8
        .value_kind:     hidden_global_offset_y
      - .offset:         80
        .size:           8
        .value_kind:     hidden_global_offset_z
      - .offset:         88
        .size:           2
        .value_kind:     hidden_grid_dims
    .group_segment_fixed_size: 0
    .kernarg_segment_align: 8
    .kernarg_segment_size: 280
    .language:       OpenCL C
    .language_version:
      - 2
      - 0
    .max_flat_workgroup_size: 1024
    .name:           _Z4Mul1IdEvPT_iS0_
    .private_segment_fixed_size: 0
    .sgpr_count:     13
    .sgpr_spill_count: 0
    .symbol:         _Z4Mul1IdEvPT_iS0_.kd
    .uniform_work_group_size: 1
    .uses_dynamic_stack: false
    .vgpr_count:     4
    .vgpr_spill_count: 0
    .wavefront_size: 64
  - .agpr_count:     0
    .args:
      - .address_space:  global
        .offset:         0
        .size:           8
        .value_kind:     global_buffer
      - .offset:         8
        .size:           4
        .value_kind:     by_value
      - .offset:         16
        .size:           8
        .value_kind:     by_value
      - .offset:         24
        .size:           4
        .value_kind:     hidden_block_count_x
      - .offset:         28
        .size:           4
        .value_kind:     hidden_block_count_y
      - .offset:         32
        .size:           4
        .value_kind:     hidden_block_count_z
      - .offset:         36
        .size:           2
        .value_kind:     hidden_group_size_x
      - .offset:         38
        .size:           2
        .value_kind:     hidden_group_size_y
      - .offset:         40
        .size:           2
        .value_kind:     hidden_group_size_z
      - .offset:         42
        .size:           2
        .value_kind:     hidden_remainder_x
      - .offset:         44
        .size:           2
        .value_kind:     hidden_remainder_y
      - .offset:         46
        .size:           2
        .value_kind:     hidden_remainder_z
      - .offset:         64
        .size:           8
        .value_kind:     hidden_global_offset_x
      - .offset:         72
        .size:           8
        .value_kind:     hidden_global_offset_y
      - .offset:         80
        .size:           8
        .value_kind:     hidden_global_offset_z
      - .offset:         88
        .size:           2
        .value_kind:     hidden_grid_dims
    .group_segment_fixed_size: 0
    .kernarg_segment_align: 8
    .kernarg_segment_size: 280
    .language:       OpenCL C
    .language_version:
      - 2
      - 0
    .max_flat_workgroup_size: 1024
    .name:           _Z4Mul2IdEvPT_iS0_
    .private_segment_fixed_size: 0
    .sgpr_count:     13
    .sgpr_spill_count: 0
    .symbol:         _Z4Mul2IdEvPT_iS0_.kd
    .uniform_work_group_size: 1
    .uses_dynamic_stack: false
    .vgpr_count:     6
    .vgpr_spill_count: 0
    .wavefront_size: 64
  - .agpr_count:     0
    .args:
      - .address_space:  global
        .offset:         0
        .size:           8
        .value_kind:     global_buffer
      - .offset:         8
        .size:           4
        .value_kind:     by_value
      - .offset:         16
        .size:           8
        .value_kind:     by_value
      - .offset:         24
        .size:           4
        .value_kind:     hidden_block_count_x
      - .offset:         28
        .size:           4
        .value_kind:     hidden_block_count_y
      - .offset:         32
        .size:           4
        .value_kind:     hidden_block_count_z
      - .offset:         36
        .size:           2
        .value_kind:     hidden_group_size_x
      - .offset:         38
        .size:           2
        .value_kind:     hidden_group_size_y
      - .offset:         40
        .size:           2
        .value_kind:     hidden_group_size_z
      - .offset:         42
        .size:           2
        .value_kind:     hidden_remainder_x
      - .offset:         44
        .size:           2
        .value_kind:     hidden_remainder_y
      - .offset:         46
        .size:           2
        .value_kind:     hidden_remainder_z
      - .offset:         64
        .size:           8
        .value_kind:     hidden_global_offset_x
      - .offset:         72
        .size:           8
        .value_kind:     hidden_global_offset_y
      - .offset:         80
        .size:           8
        .value_kind:     hidden_global_offset_z
      - .offset:         88
        .size:           2
        .value_kind:     hidden_grid_dims
    .group_segment_fixed_size: 0
    .kernarg_segment_align: 8
    .kernarg_segment_size: 280
    .language:       OpenCL C
    .language_version:
      - 2
      - 0
    .max_flat_workgroup_size: 1024
    .name:           _Z4Mul4IdEvPT_iS0_
    .private_segment_fixed_size: 0
    .sgpr_count:     14
    .sgpr_spill_count: 0
    .symbol:         _Z4Mul4IdEvPT_iS0_.kd
    .uniform_work_group_size: 1
    .uses_dynamic_stack: false
    .vgpr_count:     10
    .vgpr_spill_count: 0
    .wavefront_size: 64
  - .agpr_count:     0
    .args:
      - .address_space:  global
        .offset:         0
        .size:           8
        .value_kind:     global_buffer
      - .offset:         8
        .size:           4
        .value_kind:     by_value
      - .offset:         16
        .size:           8
        .value_kind:     by_value
      - .offset:         24
        .size:           4
        .value_kind:     hidden_block_count_x
      - .offset:         28
        .size:           4
        .value_kind:     hidden_block_count_y
      - .offset:         32
        .size:           4
        .value_kind:     hidden_block_count_z
      - .offset:         36
        .size:           2
        .value_kind:     hidden_group_size_x
      - .offset:         38
        .size:           2
        .value_kind:     hidden_group_size_y
      - .offset:         40
        .size:           2
        .value_kind:     hidden_group_size_z
      - .offset:         42
        .size:           2
        .value_kind:     hidden_remainder_x
      - .offset:         44
        .size:           2
        .value_kind:     hidden_remainder_y
      - .offset:         46
        .size:           2
        .value_kind:     hidden_remainder_z
      - .offset:         64
        .size:           8
        .value_kind:     hidden_global_offset_x
      - .offset:         72
        .size:           8
        .value_kind:     hidden_global_offset_y
      - .offset:         80
        .size:           8
        .value_kind:     hidden_global_offset_z
      - .offset:         88
        .size:           2
        .value_kind:     hidden_grid_dims
    .group_segment_fixed_size: 0
    .kernarg_segment_align: 8
    .kernarg_segment_size: 280
    .language:       OpenCL C
    .language_version:
      - 2
      - 0
    .max_flat_workgroup_size: 1024
    .name:           _Z4Mul8IdEvPT_iS0_
    .private_segment_fixed_size: 0
    .sgpr_count:     16
    .sgpr_spill_count: 0
    .symbol:         _Z4Mul8IdEvPT_iS0_.kd
    .uniform_work_group_size: 1
    .uses_dynamic_stack: false
    .vgpr_count:     18
    .vgpr_spill_count: 0
    .wavefront_size: 64
  - .agpr_count:     0
    .args:
      - .address_space:  global
        .offset:         0
        .size:           8
        .value_kind:     global_buffer
      - .offset:         8
        .size:           4
        .value_kind:     by_value
      - .offset:         16
        .size:           8
        .value_kind:     by_value
      - .offset:         24
        .size:           8
        .value_kind:     by_value
      - .offset:         32
        .size:           4
        .value_kind:     hidden_block_count_x
      - .offset:         36
        .size:           4
        .value_kind:     hidden_block_count_y
      - .offset:         40
        .size:           4
        .value_kind:     hidden_block_count_z
      - .offset:         44
        .size:           2
        .value_kind:     hidden_group_size_x
      - .offset:         46
        .size:           2
        .value_kind:     hidden_group_size_y
      - .offset:         48
        .size:           2
        .value_kind:     hidden_group_size_z
      - .offset:         50
        .size:           2
        .value_kind:     hidden_remainder_x
      - .offset:         52
        .size:           2
        .value_kind:     hidden_remainder_y
      - .offset:         54
        .size:           2
        .value_kind:     hidden_remainder_z
      - .offset:         72
        .size:           8
        .value_kind:     hidden_global_offset_x
      - .offset:         80
        .size:           8
        .value_kind:     hidden_global_offset_y
      - .offset:         88
        .size:           8
        .value_kind:     hidden_global_offset_z
      - .offset:         96
        .size:           2
        .value_kind:     hidden_grid_dims
    .group_segment_fixed_size: 0
    .kernarg_segment_align: 8
    .kernarg_segment_size: 288
    .language:       OpenCL C
    .language_version:
      - 2
      - 0
    .max_flat_workgroup_size: 1024
    .name:           _Z5MAdd1IdEvPT_iS0_S0_
    .private_segment_fixed_size: 0
    .sgpr_count:     14
    .sgpr_spill_count: 0
    .symbol:         _Z5MAdd1IdEvPT_iS0_S0_.kd
    .uniform_work_group_size: 1
    .uses_dynamic_stack: false
    .vgpr_count:     6
    .vgpr_spill_count: 0
    .wavefront_size: 64
  - .agpr_count:     0
    .args:
      - .address_space:  global
        .offset:         0
        .size:           8
        .value_kind:     global_buffer
      - .offset:         8
        .size:           4
        .value_kind:     by_value
      - .offset:         16
        .size:           8
        .value_kind:     by_value
      - .offset:         24
        .size:           8
        .value_kind:     by_value
      - .offset:         32
        .size:           4
        .value_kind:     hidden_block_count_x
      - .offset:         36
        .size:           4
        .value_kind:     hidden_block_count_y
      - .offset:         40
        .size:           4
        .value_kind:     hidden_block_count_z
      - .offset:         44
        .size:           2
        .value_kind:     hidden_group_size_x
      - .offset:         46
        .size:           2
        .value_kind:     hidden_group_size_y
      - .offset:         48
        .size:           2
        .value_kind:     hidden_group_size_z
      - .offset:         50
        .size:           2
        .value_kind:     hidden_remainder_x
      - .offset:         52
        .size:           2
        .value_kind:     hidden_remainder_y
      - .offset:         54
        .size:           2
        .value_kind:     hidden_remainder_z
      - .offset:         72
        .size:           8
        .value_kind:     hidden_global_offset_x
      - .offset:         80
        .size:           8
        .value_kind:     hidden_global_offset_y
      - .offset:         88
        .size:           8
        .value_kind:     hidden_global_offset_z
      - .offset:         96
        .size:           2
        .value_kind:     hidden_grid_dims
    .group_segment_fixed_size: 0
    .kernarg_segment_align: 8
    .kernarg_segment_size: 288
    .language:       OpenCL C
    .language_version:
      - 2
      - 0
    .max_flat_workgroup_size: 1024
    .name:           _Z5MAdd2IdEvPT_iS0_S0_
    .private_segment_fixed_size: 0
    .sgpr_count:     14
    .sgpr_spill_count: 0
    .symbol:         _Z5MAdd2IdEvPT_iS0_S0_.kd
    .uniform_work_group_size: 1
    .uses_dynamic_stack: false
    .vgpr_count:     8
    .vgpr_spill_count: 0
    .wavefront_size: 64
  - .agpr_count:     0
    .args:
      - .address_space:  global
        .offset:         0
        .size:           8
        .value_kind:     global_buffer
      - .offset:         8
        .size:           4
        .value_kind:     by_value
      - .offset:         16
        .size:           8
        .value_kind:     by_value
      - .offset:         24
        .size:           8
        .value_kind:     by_value
      - .offset:         32
        .size:           4
        .value_kind:     hidden_block_count_x
      - .offset:         36
        .size:           4
        .value_kind:     hidden_block_count_y
      - .offset:         40
        .size:           4
        .value_kind:     hidden_block_count_z
      - .offset:         44
        .size:           2
        .value_kind:     hidden_group_size_x
      - .offset:         46
        .size:           2
        .value_kind:     hidden_group_size_y
      - .offset:         48
        .size:           2
        .value_kind:     hidden_group_size_z
      - .offset:         50
        .size:           2
        .value_kind:     hidden_remainder_x
      - .offset:         52
        .size:           2
        .value_kind:     hidden_remainder_y
      - .offset:         54
        .size:           2
        .value_kind:     hidden_remainder_z
      - .offset:         72
        .size:           8
        .value_kind:     hidden_global_offset_x
      - .offset:         80
        .size:           8
        .value_kind:     hidden_global_offset_y
      - .offset:         88
        .size:           8
        .value_kind:     hidden_global_offset_z
      - .offset:         96
        .size:           2
        .value_kind:     hidden_grid_dims
    .group_segment_fixed_size: 0
    .kernarg_segment_align: 8
    .kernarg_segment_size: 288
    .language:       OpenCL C
    .language_version:
      - 2
      - 0
    .max_flat_workgroup_size: 1024
    .name:           _Z5MAdd4IdEvPT_iS0_S0_
    .private_segment_fixed_size: 0
    .sgpr_count:     14
    .sgpr_spill_count: 0
    .symbol:         _Z5MAdd4IdEvPT_iS0_S0_.kd
    .uniform_work_group_size: 1
    .uses_dynamic_stack: false
    .vgpr_count:     12
    .vgpr_spill_count: 0
    .wavefront_size: 64
  - .agpr_count:     0
    .args:
      - .address_space:  global
        .offset:         0
        .size:           8
        .value_kind:     global_buffer
      - .offset:         8
        .size:           4
        .value_kind:     by_value
      - .offset:         16
        .size:           8
        .value_kind:     by_value
      - .offset:         24
        .size:           8
        .value_kind:     by_value
      - .offset:         32
        .size:           4
        .value_kind:     hidden_block_count_x
      - .offset:         36
        .size:           4
        .value_kind:     hidden_block_count_y
      - .offset:         40
        .size:           4
        .value_kind:     hidden_block_count_z
      - .offset:         44
        .size:           2
        .value_kind:     hidden_group_size_x
      - .offset:         46
        .size:           2
        .value_kind:     hidden_group_size_y
      - .offset:         48
        .size:           2
        .value_kind:     hidden_group_size_z
      - .offset:         50
        .size:           2
        .value_kind:     hidden_remainder_x
      - .offset:         52
        .size:           2
        .value_kind:     hidden_remainder_y
      - .offset:         54
        .size:           2
        .value_kind:     hidden_remainder_z
      - .offset:         72
        .size:           8
        .value_kind:     hidden_global_offset_x
      - .offset:         80
        .size:           8
        .value_kind:     hidden_global_offset_y
      - .offset:         88
        .size:           8
        .value_kind:     hidden_global_offset_z
      - .offset:         96
        .size:           2
        .value_kind:     hidden_grid_dims
    .group_segment_fixed_size: 0
    .kernarg_segment_align: 8
    .kernarg_segment_size: 288
    .language:       OpenCL C
    .language_version:
      - 2
      - 0
    .max_flat_workgroup_size: 1024
    .name:           _Z5MAdd8IdEvPT_iS0_S0_
    .private_segment_fixed_size: 0
    .sgpr_count:     18
    .sgpr_spill_count: 0
    .symbol:         _Z5MAdd8IdEvPT_iS0_S0_.kd
    .uniform_work_group_size: 1
    .uses_dynamic_stack: false
    .vgpr_count:     20
    .vgpr_spill_count: 0
    .wavefront_size: 64
  - .agpr_count:     0
    .args:
      - .address_space:  global
        .offset:         0
        .size:           8
        .value_kind:     global_buffer
      - .offset:         8
        .size:           4
        .value_kind:     by_value
      - .offset:         16
        .size:           8
        .value_kind:     by_value
      - .offset:         24
        .size:           8
        .value_kind:     by_value
      - .offset:         32
        .size:           4
        .value_kind:     hidden_block_count_x
      - .offset:         36
        .size:           4
        .value_kind:     hidden_block_count_y
      - .offset:         40
        .size:           4
        .value_kind:     hidden_block_count_z
      - .offset:         44
        .size:           2
        .value_kind:     hidden_group_size_x
      - .offset:         46
        .size:           2
        .value_kind:     hidden_group_size_y
      - .offset:         48
        .size:           2
        .value_kind:     hidden_group_size_z
      - .offset:         50
        .size:           2
        .value_kind:     hidden_remainder_x
      - .offset:         52
        .size:           2
        .value_kind:     hidden_remainder_y
      - .offset:         54
        .size:           2
        .value_kind:     hidden_remainder_z
      - .offset:         72
        .size:           8
        .value_kind:     hidden_global_offset_x
      - .offset:         80
        .size:           8
        .value_kind:     hidden_global_offset_y
      - .offset:         88
        .size:           8
        .value_kind:     hidden_global_offset_z
      - .offset:         96
        .size:           2
        .value_kind:     hidden_grid_dims
    .group_segment_fixed_size: 0
    .kernarg_segment_align: 8
    .kernarg_segment_size: 288
    .language:       OpenCL C
    .language_version:
      - 2
      - 0
    .max_flat_workgroup_size: 1024
    .name:           _Z8MulMAdd1IdEvPT_iS0_S0_
    .private_segment_fixed_size: 0
    .sgpr_count:     14
    .sgpr_spill_count: 0
    .symbol:         _Z8MulMAdd1IdEvPT_iS0_S0_.kd
    .uniform_work_group_size: 1
    .uses_dynamic_stack: false
    .vgpr_count:     8
    .vgpr_spill_count: 0
    .wavefront_size: 64
  - .agpr_count:     0
    .args:
      - .address_space:  global
        .offset:         0
        .size:           8
        .value_kind:     global_buffer
      - .offset:         8
        .size:           4
        .value_kind:     by_value
      - .offset:         16
        .size:           8
        .value_kind:     by_value
      - .offset:         24
        .size:           8
        .value_kind:     by_value
      - .offset:         32
        .size:           4
        .value_kind:     hidden_block_count_x
      - .offset:         36
        .size:           4
        .value_kind:     hidden_block_count_y
      - .offset:         40
        .size:           4
        .value_kind:     hidden_block_count_z
      - .offset:         44
        .size:           2
        .value_kind:     hidden_group_size_x
      - .offset:         46
        .size:           2
        .value_kind:     hidden_group_size_y
      - .offset:         48
        .size:           2
        .value_kind:     hidden_group_size_z
      - .offset:         50
        .size:           2
        .value_kind:     hidden_remainder_x
      - .offset:         52
        .size:           2
        .value_kind:     hidden_remainder_y
      - .offset:         54
        .size:           2
        .value_kind:     hidden_remainder_z
      - .offset:         72
        .size:           8
        .value_kind:     hidden_global_offset_x
      - .offset:         80
        .size:           8
        .value_kind:     hidden_global_offset_y
      - .offset:         88
        .size:           8
        .value_kind:     hidden_global_offset_z
      - .offset:         96
        .size:           2
        .value_kind:     hidden_grid_dims
    .group_segment_fixed_size: 0
    .kernarg_segment_align: 8
    .kernarg_segment_size: 288
    .language:       OpenCL C
    .language_version:
      - 2
      - 0
    .max_flat_workgroup_size: 1024
    .name:           _Z8MulMAdd2IdEvPT_iS0_S0_
    .private_segment_fixed_size: 0
    .sgpr_count:     14
    .sgpr_spill_count: 0
    .symbol:         _Z8MulMAdd2IdEvPT_iS0_S0_.kd
    .uniform_work_group_size: 1
    .uses_dynamic_stack: false
    .vgpr_count:     10
    .vgpr_spill_count: 0
    .wavefront_size: 64
  - .agpr_count:     0
    .args:
      - .address_space:  global
        .offset:         0
        .size:           8
        .value_kind:     global_buffer
      - .offset:         8
        .size:           4
        .value_kind:     by_value
      - .offset:         16
        .size:           8
        .value_kind:     by_value
      - .offset:         24
        .size:           8
        .value_kind:     by_value
      - .offset:         32
        .size:           4
        .value_kind:     hidden_block_count_x
      - .offset:         36
        .size:           4
        .value_kind:     hidden_block_count_y
      - .offset:         40
        .size:           4
        .value_kind:     hidden_block_count_z
      - .offset:         44
        .size:           2
        .value_kind:     hidden_group_size_x
      - .offset:         46
        .size:           2
        .value_kind:     hidden_group_size_y
      - .offset:         48
        .size:           2
        .value_kind:     hidden_group_size_z
      - .offset:         50
        .size:           2
        .value_kind:     hidden_remainder_x
      - .offset:         52
        .size:           2
        .value_kind:     hidden_remainder_y
      - .offset:         54
        .size:           2
        .value_kind:     hidden_remainder_z
      - .offset:         72
        .size:           8
        .value_kind:     hidden_global_offset_x
      - .offset:         80
        .size:           8
        .value_kind:     hidden_global_offset_y
      - .offset:         88
        .size:           8
        .value_kind:     hidden_global_offset_z
      - .offset:         96
        .size:           2
        .value_kind:     hidden_grid_dims
    .group_segment_fixed_size: 0
    .kernarg_segment_align: 8
    .kernarg_segment_size: 288
    .language:       OpenCL C
    .language_version:
      - 2
      - 0
    .max_flat_workgroup_size: 1024
    .name:           _Z8MulMAdd4IdEvPT_iS0_S0_
    .private_segment_fixed_size: 0
    .sgpr_count:     14
    .sgpr_spill_count: 0
    .symbol:         _Z8MulMAdd4IdEvPT_iS0_S0_.kd
    .uniform_work_group_size: 1
    .uses_dynamic_stack: false
    .vgpr_count:     14
    .vgpr_spill_count: 0
    .wavefront_size: 64
  - .agpr_count:     0
    .args:
      - .address_space:  global
        .offset:         0
        .size:           8
        .value_kind:     global_buffer
      - .offset:         8
        .size:           4
        .value_kind:     by_value
      - .offset:         16
        .size:           8
        .value_kind:     by_value
      - .offset:         24
        .size:           8
        .value_kind:     by_value
      - .offset:         32
        .size:           4
        .value_kind:     hidden_block_count_x
      - .offset:         36
        .size:           4
        .value_kind:     hidden_block_count_y
      - .offset:         40
        .size:           4
        .value_kind:     hidden_block_count_z
      - .offset:         44
        .size:           2
        .value_kind:     hidden_group_size_x
      - .offset:         46
        .size:           2
        .value_kind:     hidden_group_size_y
      - .offset:         48
        .size:           2
        .value_kind:     hidden_group_size_z
      - .offset:         50
        .size:           2
        .value_kind:     hidden_remainder_x
      - .offset:         52
        .size:           2
        .value_kind:     hidden_remainder_y
      - .offset:         54
        .size:           2
        .value_kind:     hidden_remainder_z
      - .offset:         72
        .size:           8
        .value_kind:     hidden_global_offset_x
      - .offset:         80
        .size:           8
        .value_kind:     hidden_global_offset_y
      - .offset:         88
        .size:           8
        .value_kind:     hidden_global_offset_z
      - .offset:         96
        .size:           2
        .value_kind:     hidden_grid_dims
    .group_segment_fixed_size: 0
    .kernarg_segment_align: 8
    .kernarg_segment_size: 288
    .language:       OpenCL C
    .language_version:
      - 2
      - 0
    .max_flat_workgroup_size: 1024
    .name:           _Z8MulMAdd8IdEvPT_iS0_S0_
    .private_segment_fixed_size: 0
    .sgpr_count:     18
    .sgpr_spill_count: 0
    .symbol:         _Z8MulMAdd8IdEvPT_iS0_S0_.kd
    .uniform_work_group_size: 1
    .uses_dynamic_stack: false
    .vgpr_count:     22
    .vgpr_spill_count: 0
    .wavefront_size: 64
amdhsa.target:   amdgcn-amd-amdhsa--gfx950
amdhsa.version:
  - 1
  - 2
...

	.end_amdgpu_metadata
